;; amdgpu-corpus repo=ROCm/rocFFT kind=compiled arch=gfx1201 opt=O3
	.text
	.amdgcn_target "amdgcn-amd-amdhsa--gfx1201"
	.amdhsa_code_object_version 6
	.protected	fft_rtc_fwd_len1836_factors_17_3_3_2_6_wgs_153_tpt_153_halfLds_dp_ip_CI_unitstride_sbrr_R2C_dirReg ; -- Begin function fft_rtc_fwd_len1836_factors_17_3_3_2_6_wgs_153_tpt_153_halfLds_dp_ip_CI_unitstride_sbrr_R2C_dirReg
	.globl	fft_rtc_fwd_len1836_factors_17_3_3_2_6_wgs_153_tpt_153_halfLds_dp_ip_CI_unitstride_sbrr_R2C_dirReg
	.p2align	8
	.type	fft_rtc_fwd_len1836_factors_17_3_3_2_6_wgs_153_tpt_153_halfLds_dp_ip_CI_unitstride_sbrr_R2C_dirReg,@function
fft_rtc_fwd_len1836_factors_17_3_3_2_6_wgs_153_tpt_153_halfLds_dp_ip_CI_unitstride_sbrr_R2C_dirReg: ; @fft_rtc_fwd_len1836_factors_17_3_3_2_6_wgs_153_tpt_153_halfLds_dp_ip_CI_unitstride_sbrr_R2C_dirReg
; %bb.0:
	s_clause 0x2
	s_load_b128 s[4:7], s[0:1], 0x0
	s_load_b64 s[8:9], s[0:1], 0x50
	s_load_b64 s[10:11], s[0:1], 0x18
	v_mul_u32_u24_e32 v1, 0x1ad, v0
	v_mov_b32_e32 v3, 0
	s_delay_alu instid0(VALU_DEP_2) | instskip(NEXT) | instid1(VALU_DEP_1)
	v_lshrrev_b32_e32 v1, 16, v1
	v_add_nc_u32_e32 v5, ttmp9, v1
	v_mov_b32_e32 v1, 0
	v_mov_b32_e32 v2, 0
	;; [unrolled: 1-line block ×3, first 2 shown]
	s_wait_kmcnt 0x0
	v_cmp_lt_u64_e64 s2, s[6:7], 2
	s_delay_alu instid0(VALU_DEP_1)
	s_and_b32 vcc_lo, exec_lo, s2
	s_cbranch_vccnz .LBB0_8
; %bb.1:
	s_load_b64 s[2:3], s[0:1], 0x10
	v_mov_b32_e32 v1, 0
	v_mov_b32_e32 v2, 0
	s_add_nc_u64 s[12:13], s[10:11], 8
	s_mov_b64 s[14:15], 1
	s_wait_kmcnt 0x0
	s_add_nc_u64 s[16:17], s[2:3], 8
	s_mov_b32 s3, 0
.LBB0_2:                                ; =>This Inner Loop Header: Depth=1
	s_load_b64 s[18:19], s[16:17], 0x0
                                        ; implicit-def: $vgpr7_vgpr8
	s_mov_b32 s2, exec_lo
	s_wait_kmcnt 0x0
	v_or_b32_e32 v4, s19, v6
	s_delay_alu instid0(VALU_DEP_1)
	v_cmpx_ne_u64_e32 0, v[3:4]
	s_wait_alu 0xfffe
	s_xor_b32 s20, exec_lo, s2
	s_cbranch_execz .LBB0_4
; %bb.3:                                ;   in Loop: Header=BB0_2 Depth=1
	s_cvt_f32_u32 s2, s18
	s_cvt_f32_u32 s21, s19
	s_sub_nc_u64 s[24:25], 0, s[18:19]
	s_wait_alu 0xfffe
	s_delay_alu instid0(SALU_CYCLE_1) | instskip(SKIP_1) | instid1(SALU_CYCLE_2)
	s_fmamk_f32 s2, s21, 0x4f800000, s2
	s_wait_alu 0xfffe
	v_s_rcp_f32 s2, s2
	s_delay_alu instid0(TRANS32_DEP_1) | instskip(SKIP_1) | instid1(SALU_CYCLE_2)
	s_mul_f32 s2, s2, 0x5f7ffffc
	s_wait_alu 0xfffe
	s_mul_f32 s21, s2, 0x2f800000
	s_wait_alu 0xfffe
	s_delay_alu instid0(SALU_CYCLE_2) | instskip(SKIP_1) | instid1(SALU_CYCLE_2)
	s_trunc_f32 s21, s21
	s_wait_alu 0xfffe
	s_fmamk_f32 s2, s21, 0xcf800000, s2
	s_cvt_u32_f32 s23, s21
	s_wait_alu 0xfffe
	s_delay_alu instid0(SALU_CYCLE_1) | instskip(SKIP_1) | instid1(SALU_CYCLE_2)
	s_cvt_u32_f32 s22, s2
	s_wait_alu 0xfffe
	s_mul_u64 s[26:27], s[24:25], s[22:23]
	s_wait_alu 0xfffe
	s_mul_hi_u32 s29, s22, s27
	s_mul_i32 s28, s22, s27
	s_mul_hi_u32 s2, s22, s26
	s_mul_i32 s30, s23, s26
	s_wait_alu 0xfffe
	s_add_nc_u64 s[28:29], s[2:3], s[28:29]
	s_mul_hi_u32 s21, s23, s26
	s_mul_hi_u32 s31, s23, s27
	s_add_co_u32 s2, s28, s30
	s_wait_alu 0xfffe
	s_add_co_ci_u32 s2, s29, s21
	s_mul_i32 s26, s23, s27
	s_add_co_ci_u32 s27, s31, 0
	s_wait_alu 0xfffe
	s_add_nc_u64 s[26:27], s[2:3], s[26:27]
	s_wait_alu 0xfffe
	v_add_co_u32 v4, s2, s22, s26
	s_delay_alu instid0(VALU_DEP_1) | instskip(SKIP_1) | instid1(VALU_DEP_1)
	s_cmp_lg_u32 s2, 0
	s_add_co_ci_u32 s23, s23, s27
	v_readfirstlane_b32 s22, v4
	s_wait_alu 0xfffe
	s_delay_alu instid0(VALU_DEP_1)
	s_mul_u64 s[24:25], s[24:25], s[22:23]
	s_wait_alu 0xfffe
	s_mul_hi_u32 s27, s22, s25
	s_mul_i32 s26, s22, s25
	s_mul_hi_u32 s2, s22, s24
	s_mul_i32 s28, s23, s24
	s_wait_alu 0xfffe
	s_add_nc_u64 s[26:27], s[2:3], s[26:27]
	s_mul_hi_u32 s21, s23, s24
	s_mul_hi_u32 s22, s23, s25
	s_wait_alu 0xfffe
	s_add_co_u32 s2, s26, s28
	s_add_co_ci_u32 s2, s27, s21
	s_mul_i32 s24, s23, s25
	s_add_co_ci_u32 s25, s22, 0
	s_wait_alu 0xfffe
	s_add_nc_u64 s[24:25], s[2:3], s[24:25]
	s_wait_alu 0xfffe
	v_add_co_u32 v4, s2, v4, s24
	s_delay_alu instid0(VALU_DEP_1) | instskip(SKIP_1) | instid1(VALU_DEP_1)
	s_cmp_lg_u32 s2, 0
	s_add_co_ci_u32 s2, s23, s25
	v_mul_hi_u32 v13, v5, v4
	s_wait_alu 0xfffe
	v_mad_co_u64_u32 v[7:8], null, v5, s2, 0
	v_mad_co_u64_u32 v[9:10], null, v6, v4, 0
	;; [unrolled: 1-line block ×3, first 2 shown]
	s_delay_alu instid0(VALU_DEP_3) | instskip(SKIP_1) | instid1(VALU_DEP_4)
	v_add_co_u32 v4, vcc_lo, v13, v7
	s_wait_alu 0xfffd
	v_add_co_ci_u32_e32 v7, vcc_lo, 0, v8, vcc_lo
	s_delay_alu instid0(VALU_DEP_2) | instskip(SKIP_1) | instid1(VALU_DEP_2)
	v_add_co_u32 v4, vcc_lo, v4, v9
	s_wait_alu 0xfffd
	v_add_co_ci_u32_e32 v4, vcc_lo, v7, v10, vcc_lo
	s_wait_alu 0xfffd
	v_add_co_ci_u32_e32 v7, vcc_lo, 0, v12, vcc_lo
	s_delay_alu instid0(VALU_DEP_2) | instskip(SKIP_1) | instid1(VALU_DEP_2)
	v_add_co_u32 v4, vcc_lo, v4, v11
	s_wait_alu 0xfffd
	v_add_co_ci_u32_e32 v9, vcc_lo, 0, v7, vcc_lo
	s_delay_alu instid0(VALU_DEP_2) | instskip(SKIP_1) | instid1(VALU_DEP_3)
	v_mul_lo_u32 v10, s19, v4
	v_mad_co_u64_u32 v[7:8], null, s18, v4, 0
	v_mul_lo_u32 v11, s18, v9
	s_delay_alu instid0(VALU_DEP_2) | instskip(NEXT) | instid1(VALU_DEP_2)
	v_sub_co_u32 v7, vcc_lo, v5, v7
	v_add3_u32 v8, v8, v11, v10
	s_delay_alu instid0(VALU_DEP_1) | instskip(SKIP_1) | instid1(VALU_DEP_1)
	v_sub_nc_u32_e32 v10, v6, v8
	s_wait_alu 0xfffd
	v_subrev_co_ci_u32_e64 v10, s2, s19, v10, vcc_lo
	v_add_co_u32 v11, s2, v4, 2
	s_wait_alu 0xf1ff
	v_add_co_ci_u32_e64 v12, s2, 0, v9, s2
	v_sub_co_u32 v13, s2, v7, s18
	v_sub_co_ci_u32_e32 v8, vcc_lo, v6, v8, vcc_lo
	s_wait_alu 0xf1ff
	v_subrev_co_ci_u32_e64 v10, s2, 0, v10, s2
	s_delay_alu instid0(VALU_DEP_3) | instskip(NEXT) | instid1(VALU_DEP_3)
	v_cmp_le_u32_e32 vcc_lo, s18, v13
	v_cmp_eq_u32_e64 s2, s19, v8
	s_wait_alu 0xfffd
	v_cndmask_b32_e64 v13, 0, -1, vcc_lo
	v_cmp_le_u32_e32 vcc_lo, s19, v10
	s_wait_alu 0xfffd
	v_cndmask_b32_e64 v14, 0, -1, vcc_lo
	v_cmp_le_u32_e32 vcc_lo, s18, v7
	;; [unrolled: 3-line block ×3, first 2 shown]
	s_wait_alu 0xfffd
	v_cndmask_b32_e64 v15, 0, -1, vcc_lo
	v_cmp_eq_u32_e32 vcc_lo, s19, v10
	s_wait_alu 0xf1ff
	s_delay_alu instid0(VALU_DEP_2)
	v_cndmask_b32_e64 v7, v15, v7, s2
	s_wait_alu 0xfffd
	v_cndmask_b32_e32 v10, v14, v13, vcc_lo
	v_add_co_u32 v13, vcc_lo, v4, 1
	s_wait_alu 0xfffd
	v_add_co_ci_u32_e32 v14, vcc_lo, 0, v9, vcc_lo
	s_delay_alu instid0(VALU_DEP_3) | instskip(SKIP_2) | instid1(VALU_DEP_3)
	v_cmp_ne_u32_e32 vcc_lo, 0, v10
	s_wait_alu 0xfffd
	v_cndmask_b32_e32 v10, v13, v11, vcc_lo
	v_cndmask_b32_e32 v8, v14, v12, vcc_lo
	v_cmp_ne_u32_e32 vcc_lo, 0, v7
	s_wait_alu 0xfffd
	s_delay_alu instid0(VALU_DEP_2)
	v_dual_cndmask_b32 v7, v4, v10 :: v_dual_cndmask_b32 v8, v9, v8
.LBB0_4:                                ;   in Loop: Header=BB0_2 Depth=1
	s_wait_alu 0xfffe
	s_and_not1_saveexec_b32 s2, s20
	s_cbranch_execz .LBB0_6
; %bb.5:                                ;   in Loop: Header=BB0_2 Depth=1
	v_cvt_f32_u32_e32 v4, s18
	s_sub_co_i32 s20, 0, s18
	s_delay_alu instid0(VALU_DEP_1) | instskip(NEXT) | instid1(TRANS32_DEP_1)
	v_rcp_iflag_f32_e32 v4, v4
	v_mul_f32_e32 v4, 0x4f7ffffe, v4
	s_delay_alu instid0(VALU_DEP_1) | instskip(SKIP_1) | instid1(VALU_DEP_1)
	v_cvt_u32_f32_e32 v4, v4
	s_wait_alu 0xfffe
	v_mul_lo_u32 v7, s20, v4
	s_delay_alu instid0(VALU_DEP_1) | instskip(NEXT) | instid1(VALU_DEP_1)
	v_mul_hi_u32 v7, v4, v7
	v_add_nc_u32_e32 v4, v4, v7
	s_delay_alu instid0(VALU_DEP_1) | instskip(NEXT) | instid1(VALU_DEP_1)
	v_mul_hi_u32 v4, v5, v4
	v_mul_lo_u32 v7, v4, s18
	v_add_nc_u32_e32 v8, 1, v4
	s_delay_alu instid0(VALU_DEP_2) | instskip(NEXT) | instid1(VALU_DEP_1)
	v_sub_nc_u32_e32 v7, v5, v7
	v_subrev_nc_u32_e32 v9, s18, v7
	v_cmp_le_u32_e32 vcc_lo, s18, v7
	s_wait_alu 0xfffd
	s_delay_alu instid0(VALU_DEP_2) | instskip(NEXT) | instid1(VALU_DEP_1)
	v_dual_cndmask_b32 v7, v7, v9 :: v_dual_cndmask_b32 v4, v4, v8
	v_cmp_le_u32_e32 vcc_lo, s18, v7
	s_delay_alu instid0(VALU_DEP_2) | instskip(SKIP_1) | instid1(VALU_DEP_1)
	v_add_nc_u32_e32 v8, 1, v4
	s_wait_alu 0xfffd
	v_dual_cndmask_b32 v7, v4, v8 :: v_dual_mov_b32 v8, v3
.LBB0_6:                                ;   in Loop: Header=BB0_2 Depth=1
	s_wait_alu 0xfffe
	s_or_b32 exec_lo, exec_lo, s2
	s_load_b64 s[20:21], s[12:13], 0x0
	s_delay_alu instid0(VALU_DEP_1)
	v_mul_lo_u32 v4, v8, s18
	v_mul_lo_u32 v11, v7, s19
	v_mad_co_u64_u32 v[9:10], null, v7, s18, 0
	s_add_nc_u64 s[14:15], s[14:15], 1
	s_add_nc_u64 s[12:13], s[12:13], 8
	s_wait_alu 0xfffe
	v_cmp_ge_u64_e64 s2, s[14:15], s[6:7]
	s_add_nc_u64 s[16:17], s[16:17], 8
	s_delay_alu instid0(VALU_DEP_2) | instskip(NEXT) | instid1(VALU_DEP_3)
	v_add3_u32 v4, v10, v11, v4
	v_sub_co_u32 v5, vcc_lo, v5, v9
	s_wait_alu 0xfffd
	s_delay_alu instid0(VALU_DEP_2) | instskip(SKIP_3) | instid1(VALU_DEP_2)
	v_sub_co_ci_u32_e32 v4, vcc_lo, v6, v4, vcc_lo
	s_and_b32 vcc_lo, exec_lo, s2
	s_wait_kmcnt 0x0
	v_mul_lo_u32 v6, s21, v5
	v_mul_lo_u32 v4, s20, v4
	v_mad_co_u64_u32 v[1:2], null, s20, v5, v[1:2]
	s_delay_alu instid0(VALU_DEP_1)
	v_add3_u32 v2, v6, v2, v4
	s_wait_alu 0xfffe
	s_cbranch_vccnz .LBB0_9
; %bb.7:                                ;   in Loop: Header=BB0_2 Depth=1
	v_dual_mov_b32 v5, v7 :: v_dual_mov_b32 v6, v8
	s_branch .LBB0_2
.LBB0_8:
	v_dual_mov_b32 v8, v6 :: v_dual_mov_b32 v7, v5
.LBB0_9:
	s_lshl_b64 s[2:3], s[6:7], 3
	v_mul_hi_u32 v3, 0x1ac5702, v0
	s_wait_alu 0xfffe
	s_add_nc_u64 s[2:3], s[10:11], s[2:3]
	s_load_b64 s[2:3], s[2:3], 0x0
	s_load_b64 s[0:1], s[0:1], 0x20
	s_delay_alu instid0(VALU_DEP_1) | instskip(NEXT) | instid1(VALU_DEP_1)
	v_mul_u32_u24_e32 v3, 0x99, v3
	v_sub_nc_u32_e32 v68, v0, v3
	s_delay_alu instid0(VALU_DEP_1)
	v_lshl_add_u32 v146, v68, 4, 0
	s_wait_kmcnt 0x0
	v_mul_lo_u32 v4, s2, v8
	v_mul_lo_u32 v5, s3, v7
	v_mad_co_u64_u32 v[1:2], null, s2, v7, v[1:2]
	v_cmp_gt_u64_e32 vcc_lo, s[0:1], v[7:8]
	s_delay_alu instid0(VALU_DEP_2) | instskip(NEXT) | instid1(VALU_DEP_1)
	v_add3_u32 v2, v5, v2, v4
	v_lshlrev_b64_e32 v[70:71], 4, v[1:2]
	s_and_saveexec_b32 s1, vcc_lo
	s_cbranch_execz .LBB0_11
; %bb.10:
	v_mov_b32_e32 v69, 0
	s_delay_alu instid0(VALU_DEP_2) | instskip(SKIP_2) | instid1(VALU_DEP_3)
	v_add_co_u32 v2, s0, s8, v70
	s_wait_alu 0xf1ff
	v_add_co_ci_u32_e64 v3, s0, s9, v71, s0
	v_lshlrev_b64_e32 v[0:1], 4, v[68:69]
	s_delay_alu instid0(VALU_DEP_1) | instskip(SKIP_1) | instid1(VALU_DEP_2)
	v_add_co_u32 v44, s0, v2, v0
	s_wait_alu 0xf1ff
	v_add_co_ci_u32_e64 v45, s0, v3, v1, s0
	s_clause 0xb
	global_load_b128 v[0:3], v[44:45], off
	global_load_b128 v[4:7], v[44:45], off offset:2448
	global_load_b128 v[8:11], v[44:45], off offset:4896
	;; [unrolled: 1-line block ×11, first 2 shown]
	s_wait_loadcnt 0xb
	ds_store_b128 v146, v[0:3]
	s_wait_loadcnt 0xa
	ds_store_b128 v146, v[4:7] offset:2448
	s_wait_loadcnt 0x9
	ds_store_b128 v146, v[8:11] offset:4896
	;; [unrolled: 2-line block ×11, first 2 shown]
.LBB0_11:
	s_wait_alu 0xfffe
	s_or_b32 exec_lo, exec_lo, s1
	global_wb scope:SCOPE_SE
	s_wait_dscnt 0x0
	s_barrier_signal -1
	s_barrier_wait -1
	global_inv scope:SCOPE_SE
	ds_load_b128 v[8:11], v146
	ds_load_b128 v[36:39], v146 offset:1728
	ds_load_b128 v[40:43], v146 offset:3456
	;; [unrolled: 1-line block ×16, first 2 shown]
	s_mov_b32 s33, exec_lo
	global_wb scope:SCOPE_SE
	s_wait_dscnt 0x0
	s_barrier_signal -1
	s_barrier_wait -1
	global_inv scope:SCOPE_SE
	v_cmpx_gt_u32_e32 0x6c, v68
	s_cbranch_execz .LBB0_13
; %bb.12:
	v_add_f64_e32 v[72:73], v[10:11], v[38:39]
	v_add_f64_e32 v[74:75], v[8:9], v[36:37]
	;; [unrolled: 1-line block ×3, first 2 shown]
	v_add_f64_e64 v[118:119], v[38:39], -v[2:3]
	s_mov_b32 s20, 0x7c9e640b
	s_mov_b32 s0, 0x6ed5f1bb
	;; [unrolled: 1-line block ×14, first 2 shown]
	s_wait_alu 0xfffe
	s_mov_b32 s42, s6
	s_mov_b32 s38, s28
	v_add_f64_e32 v[147:148], v[42:43], v[6:7]
	v_add_f64_e64 v[144:145], v[42:43], -v[6:7]
	s_mov_b32 s2, 0x75d4884
	s_mov_b32 s3, 0x3fe7a5f6
	v_add_f64_e32 v[78:79], v[62:63], v[34:35]
	v_add_f64_e64 v[80:81], v[62:63], -v[34:35]
	s_mov_b32 s14, 0x3259b75e
	s_mov_b32 s30, 0xeb564b22
	;; [unrolled: 1-line block ×12, first 2 shown]
	v_add_f64_e32 v[72:73], v[72:73], v[42:43]
	v_add_f64_e32 v[74:75], v[74:75], v[40:41]
	v_mul_f64_e32 v[106:107], s[12:13], v[104:105]
	v_mul_f64_e32 v[102:103], s[10:11], v[104:105]
	;; [unrolled: 1-line block ×5, first 2 shown]
	s_mov_b32 s51, 0x3feec746
	s_mov_b32 s17, 0x3fdc86fa
	;; [unrolled: 1-line block ×11, first 2 shown]
	s_wait_alu 0xfffe
	s_mov_b32 s34, s22
	v_add_f64_e32 v[84:85], v[66:67], v[30:31]
	v_add_f64_e32 v[142:143], v[46:47], v[14:15]
	v_mul_f64_e32 v[42:43], s[14:15], v[104:105]
	v_mul_f64_e32 v[38:39], s[16:17], v[104:105]
	;; [unrolled: 1-line block ×11, first 2 shown]
	s_mov_b32 s41, 0x3fe58eea
	s_mov_b32 s40, s26
	v_add_f64_e32 v[88:89], v[58:59], v[26:27]
	v_add_f64_e64 v[82:83], v[56:57], -v[24:25]
	v_mul_f64_e32 v[173:174], s[14:15], v[147:148]
	s_mov_b32 s49, 0x3fefdd0d
	v_add_f64_e32 v[72:73], v[72:73], v[46:47]
	v_add_f64_e32 v[74:75], v[74:75], v[44:45]
	v_add_f64_e64 v[46:47], v[46:47], -v[14:15]
	s_mov_b32 s37, 0x3fd71e95
	s_mov_b32 s48, s30
	;; [unrolled: 1-line block ×3, first 2 shown]
	v_add_f64_e32 v[94:95], v[50:51], v[18:19]
	v_mul_f64_e32 v[153:154], s[10:11], v[147:148]
	v_mul_f64_e32 v[161:162], s[12:13], v[147:148]
	;; [unrolled: 1-line block ×4, first 2 shown]
	v_add_f64_e64 v[76:77], v[64:65], -v[28:29]
	v_add_f64_e32 v[92:93], v[54:55], v[22:23]
	v_add_f64_e64 v[86:87], v[52:53], -v[20:21]
	v_mul_f64_e32 v[126:127], s[36:37], v[144:145]
	v_mul_f64_e32 v[155:156], s[28:29], v[144:145]
	;; [unrolled: 1-line block ×4, first 2 shown]
	v_add_f64_e64 v[90:91], v[48:49], -v[16:17]
	v_lshl_add_u32 v69, v68, 8, v146
	v_mul_f64_e32 v[128:129], s[10:11], v[142:143]
	v_mul_f64_e32 v[136:137], s[14:15], v[142:143]
	;; [unrolled: 1-line block ×6, first 2 shown]
	v_add_f64_e32 v[72:73], v[72:73], v[50:51]
	v_add_f64_e32 v[74:75], v[74:75], v[48:49]
	v_add_f64_e64 v[50:51], v[50:51], -v[18:19]
	v_mul_f64_e32 v[130:131], s[30:31], v[46:47]
	v_add_f64_e32 v[48:49], v[48:49], v[16:17]
	v_mul_f64_e32 v[159:160], s[40:41], v[46:47]
	v_mul_f64_e32 v[185:186], s[2:3], v[94:95]
	;; [unrolled: 1-line block ×5, first 2 shown]
	v_add_f64_e32 v[72:73], v[72:73], v[54:55]
	v_add_f64_e32 v[74:75], v[74:75], v[52:53]
	v_add_f64_e32 v[52:53], v[52:53], v[20:21]
	v_add_f64_e64 v[54:55], v[54:55], -v[22:23]
	s_delay_alu instid0(VALU_DEP_4) | instskip(NEXT) | instid1(VALU_DEP_4)
	v_add_f64_e32 v[72:73], v[72:73], v[58:59]
	v_add_f64_e32 v[74:75], v[74:75], v[56:57]
	;; [unrolled: 1-line block ×3, first 2 shown]
	v_add_f64_e64 v[58:59], v[58:59], -v[26:27]
	s_delay_alu instid0(VALU_DEP_4) | instskip(NEXT) | instid1(VALU_DEP_4)
	v_add_f64_e32 v[96:97], v[72:73], v[66:67]
	v_add_f64_e32 v[98:99], v[74:75], v[64:65]
	v_add_f64_e64 v[72:73], v[60:61], -v[32:33]
	v_add_f64_e32 v[74:75], v[60:61], v[32:33]
	v_add_f64_e64 v[66:67], v[66:67], -v[30:31]
	v_add_f64_e32 v[64:65], v[64:65], v[28:29]
	v_add_f64_e32 v[100:101], v[96:97], v[62:63]
	;; [unrolled: 1-line block ×3, first 2 shown]
	v_add_f64_e64 v[96:97], v[36:37], -v[0:1]
	v_add_f64_e32 v[36:37], v[36:37], v[0:1]
	v_add_f64_e64 v[62:63], v[40:41], -v[4:5]
	v_add_f64_e32 v[40:41], v[40:41], v[4:5]
	;; [unrolled: 2-line block ×3, first 2 shown]
	v_add_f64_e32 v[140:141], v[100:101], v[34:35]
	v_add_f64_e32 v[149:150], v[98:99], v[32:33]
	v_mul_f64_e32 v[100:101], s[0:1], v[104:105]
	v_mul_f64_e32 v[34:35], s[2:3], v[104:105]
	;; [unrolled: 1-line block ×5, first 2 shown]
	v_fma_f64 v[187:188], v[96:97], s[22:23], v[106:107]
	v_fma_f64 v[106:107], v[96:97], s[34:35], v[106:107]
	;; [unrolled: 1-line block ×7, first 2 shown]
	v_fma_f64 v[110:111], v[36:37], s[16:17], -v[110:111]
	v_fma_f64 v[120:121], v[36:37], s[10:11], -v[120:121]
	v_fma_f64 v[195:196], v[96:97], s[48:49], v[42:43]
	v_fma_f64 v[42:43], v[96:97], s[30:31], v[42:43]
	;; [unrolled: 1-line block ×4, first 2 shown]
	v_fma_f64 v[116:117], v[36:37], s[0:1], -v[116:117]
	v_fma_f64 v[203:204], v[36:37], s[44:45], v[114:115]
	v_fma_f64 v[114:115], v[36:37], s[44:45], -v[114:115]
	v_fma_f64 v[205:206], v[36:37], s[14:15], v[112:113]
	;; [unrolled: 2-line block ×4, first 2 shown]
	v_fma_f64 v[219:220], v[40:41], s[16:17], v[134:135]
	v_fma_f64 v[132:133], v[62:63], s[46:47], v[132:133]
	;; [unrolled: 1-line block ×3, first 2 shown]
	v_fma_f64 v[239:240], v[40:41], s[0:1], -v[169:170]
	v_fma_f64 v[243:244], v[62:63], s[30:31], v[173:174]
	v_fma_f64 v[134:135], v[40:41], s[16:17], -v[134:135]
	v_fma_f64 v[215:216], v[60:61], s[28:29], v[128:129]
	v_fma_f64 v[128:129], v[60:61], s[38:39], v[128:129]
	;; [unrolled: 1-line block ×4, first 2 shown]
	v_add_f64_e32 v[151:152], v[140:141], v[30:31]
	v_add_f64_e32 v[149:150], v[149:150], v[28:29]
	v_mul_f64_e32 v[30:31], s[50:51], v[144:145]
	v_fma_f64 v[191:192], v[96:97], s[6:7], v[100:101]
	v_mul_f64_e32 v[140:141], s[18:19], v[142:143]
	v_fma_f64 v[100:101], v[96:97], s[42:43], v[100:101]
	v_fma_f64 v[193:194], v[96:97], s[50:51], v[98:99]
	;; [unrolled: 1-line block ×4, first 2 shown]
	v_add_f64_e32 v[187:188], v[10:11], v[187:188]
	v_add_f64_e32 v[106:107], v[10:11], v[106:107]
	;; [unrolled: 1-line block ×7, first 2 shown]
	v_mul_f64_e32 v[28:29], s[24:25], v[46:47]
	v_mul_f64_e32 v[142:143], s[16:17], v[142:143]
	;; [unrolled: 1-line block ×3, first 2 shown]
	v_add_f64_e32 v[120:121], v[8:9], v[120:121]
	v_fma_f64 v[138:139], v[62:63], s[50:51], v[138:139]
	v_fma_f64 v[237:238], v[62:63], s[42:43], v[167:168]
	;; [unrolled: 1-line block ×4, first 2 shown]
	v_add_f64_e32 v[116:117], v[8:9], v[116:117]
	v_add_f64_e32 v[195:196], v[10:11], v[195:196]
	;; [unrolled: 1-line block ×5, first 2 shown]
	v_mul_f64_e32 v[118:119], s[38:39], v[46:47]
	v_mul_f64_e32 v[46:47], s[20:21], v[46:47]
	v_fma_f64 v[213:214], v[40:41], s[18:19], v[126:127]
	v_fma_f64 v[229:230], v[60:61], s[40:41], v[157:158]
	;; [unrolled: 1-line block ×7, first 2 shown]
	v_add_f64_e32 v[26:27], v[151:152], v[26:27]
	v_add_f64_e32 v[24:25], v[149:150], v[24:25]
	v_fma_f64 v[149:150], v[96:97], s[40:41], v[34:35]
	v_fma_f64 v[34:35], v[96:97], s[26:27], v[34:35]
	v_fma_f64 v[151:152], v[96:97], s[36:37], v[32:33]
	v_fma_f64 v[32:33], v[96:97], s[24:25], v[32:33]
	v_fma_f64 v[96:97], v[36:37], s[12:13], v[122:123]
	v_fma_f64 v[122:123], v[36:37], s[12:13], -v[122:123]
	v_fma_f64 v[36:37], v[36:37], s[18:19], -v[104:105]
	v_fma_f64 v[104:105], v[62:63], s[24:25], v[124:125]
	v_fma_f64 v[124:125], v[62:63], s[36:37], v[124:125]
	;; [unrolled: 1-line block ×3, first 2 shown]
	v_add_f64_e32 v[191:192], v[10:11], v[191:192]
	v_fma_f64 v[227:228], v[60:61], s[36:37], v[140:141]
	v_add_f64_e32 v[100:101], v[10:11], v[100:101]
	v_add_f64_e32 v[193:194], v[10:11], v[193:194]
	;; [unrolled: 1-line block ×7, first 2 shown]
	v_mul_f64_e32 v[239:240], s[10:11], v[94:95]
	v_fma_f64 v[167:168], v[62:63], s[6:7], v[167:168]
	v_fma_f64 v[173:174], v[62:63], s[48:49], v[173:174]
	;; [unrolled: 1-line block ×6, first 2 shown]
	v_add_f64_e32 v[203:204], v[8:9], v[203:204]
	v_add_f64_e32 v[114:115], v[8:9], v[114:115]
	;; [unrolled: 1-line block ×8, first 2 shown]
	v_fma_f64 v[126:127], v[40:41], s[18:19], -v[126:127]
	v_fma_f64 v[130:131], v[44:45], s[14:15], -v[130:131]
	v_add_f64_e32 v[22:23], v[26:27], v[22:23]
	v_add_f64_e32 v[20:21], v[24:25], v[20:21]
	v_fma_f64 v[24:25], v[40:41], s[44:45], -v[30:31]
	v_add_f64_e32 v[34:35], v[10:11], v[34:35]
	v_add_f64_e32 v[149:150], v[10:11], v[149:150]
	;; [unrolled: 1-line block ×4, first 2 shown]
	v_fma_f64 v[26:27], v[60:61], s[24:25], v[140:141]
	v_fma_f64 v[30:31], v[62:63], s[28:29], v[153:154]
	v_add_f64_e32 v[104:105], v[104:105], v[187:188]
	v_add_f64_e32 v[106:107], v[124:125], v[106:107]
	;; [unrolled: 1-line block ×4, first 2 shown]
	v_mul_f64_e32 v[223:224], s[0:1], v[94:95]
	v_mul_f64_e32 v[225:226], s[6:7], v[50:51]
	v_fma_f64 v[153:154], v[62:63], s[38:39], v[153:154]
	v_fma_f64 v[62:63], v[62:63], s[40:41], v[147:148]
	;; [unrolled: 1-line block ×4, first 2 shown]
	v_fma_f64 v[142:143], v[40:41], s[2:3], -v[144:145]
	v_add_f64_e32 v[96:97], v[8:9], v[96:97]
	v_add_f64_e32 v[122:123], v[8:9], v[122:123]
	v_add_f64_e32 v[8:9], v[8:9], v[36:37]
	v_add_f64_e32 v[120:121], v[134:135], v[120:121]
	v_fma_f64 v[140:141], v[40:41], s[10:11], -v[155:156]
	v_mul_f64_e32 v[187:188], s[0:1], v[92:93]
	v_add_f64_e32 v[100:101], v[138:139], v[100:101]
	v_mul_f64_e32 v[138:139], s[18:19], v[92:93]
	v_add_f64_e32 v[38:39], v[237:238], v[38:39]
	v_add_f64_e32 v[189:190], v[221:222], v[189:190]
	;; [unrolled: 1-line block ×4, first 2 shown]
	v_fma_f64 v[233:234], v[40:41], s[12:13], -v[163:164]
	v_fma_f64 v[245:246], v[40:41], s[14:15], -v[175:176]
	v_fma_f64 v[155:156], v[40:41], s[10:11], v[155:156]
	v_fma_f64 v[163:164], v[40:41], s[12:13], v[163:164]
	;; [unrolled: 1-line block ×4, first 2 shown]
	v_add_f64_e32 v[18:19], v[22:23], v[18:19]
	v_add_f64_e32 v[16:17], v[20:21], v[16:17]
	v_fma_f64 v[20:21], v[44:45], s[18:19], v[28:29]
	v_add_f64_e32 v[34:35], v[243:244], v[34:35]
	v_mul_f64_e32 v[243:244], s[38:39], v[50:51]
	v_add_f64_e32 v[24:25], v[24:25], v[116:117]
	v_mul_f64_e32 v[116:117], s[24:25], v[54:55]
	;; [unrolled: 2-line block ×3, first 2 shown]
	v_add_f64_e32 v[104:105], v[215:216], v[104:105]
	v_fma_f64 v[215:216], v[90:91], s[26:27], v[185:186]
	v_add_f64_e32 v[106:107], v[128:129], v[106:107]
	v_fma_f64 v[185:186], v[90:91], s[40:41], v[185:186]
	v_fma_f64 v[221:222], v[90:91], s[42:43], v[223:224]
	;; [unrolled: 1-line block ×4, first 2 shown]
	v_add_f64_e32 v[191:192], v[227:228], v[191:192]
	v_fma_f64 v[227:228], v[90:91], s[28:29], v[239:240]
	v_fma_f64 v[40:41], v[40:41], s[2:3], v[144:145]
	;; [unrolled: 1-line block ×3, first 2 shown]
	v_fma_f64 v[118:119], v[44:45], s[10:11], -v[118:119]
	v_fma_f64 v[22:23], v[44:45], s[18:19], -v[28:29]
	;; [unrolled: 1-line block ×3, first 2 shown]
	v_fma_f64 v[159:160], v[44:45], s[2:3], v[159:160]
	v_fma_f64 v[32:33], v[44:45], s[44:45], -v[179:180]
	v_fma_f64 v[36:37], v[44:45], s[44:45], v[179:180]
	v_fma_f64 v[179:180], v[44:45], s[12:13], -v[181:182]
	v_fma_f64 v[181:182], v[44:45], s[12:13], v[181:182]
	v_add_f64_e32 v[96:97], v[213:214], v[96:97]
	v_add_f64_e32 v[8:9], v[142:143], v[8:9]
	v_mul_f64_e32 v[142:143], s[48:49], v[54:55]
	v_add_f64_e32 v[122:123], v[126:127], v[122:123]
	v_add_f64_e32 v[120:121], v[130:131], v[120:121]
	v_fma_f64 v[225:226], v[48:49], s[0:1], -v[225:226]
	v_mul_f64_e32 v[124:125], s[16:17], v[88:89]
	v_add_f64_e32 v[30:31], v[30:31], v[98:99]
	v_mul_f64_e32 v[98:99], s[12:13], v[88:89]
	v_add_f64_e32 v[114:115], v[140:141], v[114:115]
	v_add_f64_e32 v[14:15], v[18:19], v[14:15]
	v_add_f64_e32 v[12:13], v[16:17], v[12:13]
	v_fma_f64 v[16:17], v[44:45], s[0:1], -v[183:184]
	v_fma_f64 v[18:19], v[44:45], s[0:1], v[183:184]
	v_fma_f64 v[183:184], v[44:45], s[16:17], -v[46:47]
	v_fma_f64 v[44:45], v[44:45], s[16:17], v[46:47]
	v_mul_f64_e32 v[46:47], s[40:41], v[50:51]
	v_add_f64_e32 v[20:21], v[20:21], v[201:202]
	v_fma_f64 v[201:202], v[48:49], s[10:11], v[243:244]
	v_mul_f64_e32 v[140:141], s[34:35], v[58:59]
	v_add_f64_e32 v[153:154], v[153:154], v[193:194]
	v_mul_f64_e32 v[193:194], s[2:3], v[88:89]
	v_add_f64_e32 v[104:105], v[215:216], v[104:105]
	v_fma_f64 v[215:216], v[86:87], s[6:7], v[187:188]
	v_add_f64_e32 v[106:107], v[185:186], v[106:107]
	v_fma_f64 v[187:188], v[86:87], s[42:43], v[187:188]
	;; [unrolled: 2-line block ×4, first 2 shown]
	v_add_f64_e32 v[199:200], v[251:252], v[199:200]
	v_add_f64_e32 v[102:103], v[223:224], v[102:103]
	v_fma_f64 v[138:139], v[86:87], s[24:25], v[138:139]
	v_add_f64_e32 v[191:192], v[227:228], v[191:192]
	v_fma_f64 v[227:228], v[86:87], s[30:31], v[249:250]
	v_mul_f64_e32 v[213:214], s[42:43], v[54:55]
	v_add_f64_e32 v[112:113], v[233:234], v[112:113]
	v_add_f64_e32 v[163:164], v[163:164], v[205:206]
	v_mul_f64_e32 v[205:206], s[26:27], v[58:59]
	v_add_f64_e32 v[96:97], v[144:145], v[96:97]
	v_add_f64_e32 v[26:27], v[26:27], v[100:101]
	v_fma_f64 v[239:240], v[90:91], s[38:39], v[239:240]
	v_add_f64_e32 v[22:23], v[22:23], v[24:25]
	v_fma_f64 v[243:244], v[48:49], s[10:11], -v[243:244]
	v_add_f64_e32 v[161:162], v[161:162], v[195:196]
	v_mul_f64_e32 v[195:196], s[20:21], v[50:51]
	v_add_f64_e32 v[118:119], v[118:119], v[122:123]
	v_add_f64_e32 v[120:121], v[225:226], v[120:121]
	v_fma_f64 v[116:117], v[52:53], s[18:19], -v[116:117]
	v_mul_f64_e32 v[217:218], s[44:45], v[84:85]
	v_mul_f64_e32 v[233:234], s[40:41], v[66:67]
	v_add_f64_e32 v[167:168], v[167:168], v[197:198]
	v_mul_f64_e32 v[197:198], s[12:13], v[84:85]
	v_add_f64_e32 v[155:156], v[155:156], v[203:204]
	v_fma_f64 v[144:145], v[48:49], s[2:3], v[46:47]
	v_fma_f64 v[46:47], v[48:49], s[2:3], -v[46:47]
	v_add_f64_e32 v[20:21], v[201:202], v[20:21]
	v_fma_f64 v[201:202], v[52:53], s[14:15], v[142:143]
	v_mul_f64_e32 v[203:204], s[16:17], v[94:95]
	v_mul_f64_e32 v[100:101], s[18:19], v[94:95]
	;; [unrolled: 1-line block ×3, first 2 shown]
	v_add_f64_e32 v[104:105], v[215:216], v[104:105]
	v_fma_f64 v[215:216], v[82:83], s[20:21], v[124:125]
	v_add_f64_e32 v[106:107], v[187:188], v[106:107]
	v_fma_f64 v[124:125], v[82:83], s[46:47], v[124:125]
	v_mul_f64_e32 v[251:252], s[50:51], v[50:51]
	v_add_f64_e32 v[189:190], v[241:242], v[189:190]
	v_fma_f64 v[241:242], v[82:83], s[22:23], v[98:99]
	v_add_f64_e32 v[199:200], v[221:222], v[199:200]
	v_fma_f64 v[221:222], v[56:57], s[12:13], v[140:141]
	;; [unrolled: 2-line block ×4, first 2 shown]
	v_add_f64_e32 v[32:33], v[32:33], v[112:113]
	v_mul_f64_e32 v[112:113], s[44:45], v[94:95]
	v_add_f64_e32 v[110:111], v[179:180], v[110:111]
	v_fma_f64 v[179:180], v[56:57], s[2:3], v[205:206]
	v_mul_f64_e32 v[126:127], s[46:47], v[58:59]
	v_add_f64_e32 v[26:27], v[239:240], v[26:27]
	v_mul_f64_e32 v[239:240], s[12:13], v[94:95]
	v_add_f64_e32 v[22:23], v[243:244], v[22:23]
	v_mul_f64_e32 v[243:244], s[34:35], v[50:51]
	v_mul_f64_e32 v[94:95], s[14:15], v[94:95]
	;; [unrolled: 1-line block ×3, first 2 shown]
	v_add_f64_e32 v[42:43], v[231:232], v[42:43]
	v_add_f64_e32 v[108:109], v[245:246], v[108:109]
	;; [unrolled: 1-line block ×3, first 2 shown]
	v_mul_f64_e32 v[209:210], s[34:35], v[54:55]
	v_add_f64_e32 v[28:29], v[28:29], v[114:115]
	v_fma_f64 v[114:115], v[48:49], s[16:17], -v[195:196]
	v_fma_f64 v[140:141], v[56:57], s[12:13], -v[140:141]
	v_add_f64_e32 v[96:97], v[144:145], v[96:97]
	v_fma_f64 v[144:145], v[52:53], s[0:1], v[213:214]
	v_add_f64_e32 v[46:47], v[46:47], v[118:119]
	v_add_f64_e32 v[20:21], v[201:202], v[20:21]
	v_fma_f64 v[213:214], v[52:53], s[0:1], -v[213:214]
	v_add_f64_e32 v[116:117], v[116:117], v[120:121]
	v_add_f64_e32 v[149:150], v[173:174], v[149:150]
	v_fma_f64 v[120:121], v[76:77], s[50:51], v[217:218]
	v_add_f64_e32 v[104:105], v[215:216], v[104:105]
	v_add_f64_e32 v[169:170], v[169:170], v[207:208]
	;; [unrolled: 1-line block ×3, first 2 shown]
	v_fma_f64 v[124:125], v[64:65], s[2:3], v[233:234]
	v_add_f64_e32 v[62:63], v[62:63], v[151:152]
	v_add_f64_e32 v[189:190], v[241:242], v[189:190]
	v_fma_f64 v[241:242], v[76:77], s[22:23], v[197:198]
	v_add_f64_e32 v[199:200], v[221:222], v[199:200]
	v_add_f64_e32 v[40:41], v[40:41], v[211:212]
	v_mul_f64_e32 v[122:123], s[12:13], v[92:93]
	v_add_f64_e32 v[138:139], v[138:139], v[191:192]
	v_mul_f64_e32 v[185:186], s[16:17], v[92:93]
	v_mul_f64_e32 v[118:119], s[20:21], v[54:55]
	;; [unrolled: 1-line block ×6, first 2 shown]
	v_add_f64_e32 v[26:27], v[249:250], v[26:27]
	v_fma_f64 v[249:250], v[48:49], s[18:19], -v[24:25]
	v_fma_f64 v[191:192], v[48:49], s[44:45], -v[251:252]
	v_add_f64_e32 v[34:35], v[247:248], v[34:35]
	v_add_f64_e32 v[10:11], v[147:148], v[10:11]
	;; [unrolled: 1-line block ×3, first 2 shown]
	v_fma_f64 v[183:184], v[90:91], s[30:31], v[94:95]
	v_add_f64_e32 v[153:154], v[157:158], v[153:154]
	v_fma_f64 v[157:158], v[48:49], s[14:15], -v[50:51]
	v_mul_f64_e32 v[231:232], s[2:3], v[84:85]
	v_mul_f64_e32 v[211:212], s[48:49], v[58:59]
	v_add_f64_e32 v[30:31], v[229:230], v[30:31]
	v_fma_f64 v[229:230], v[90:91], s[20:21], v[203:204]
	v_add_f64_e32 v[42:43], v[235:236], v[42:43]
	v_add_f64_e32 v[96:97], v[144:145], v[96:97]
	v_mul_f64_e32 v[144:145], s[10:11], v[92:93]
	v_mul_f64_e32 v[92:93], s[44:45], v[92:93]
	v_add_f64_e32 v[20:21], v[179:180], v[20:21]
	v_fma_f64 v[179:180], v[90:91], s[34:35], v[239:240]
	v_add_f64_e32 v[28:29], v[114:115], v[28:29]
	v_fma_f64 v[114:115], v[52:53], s[12:13], -v[209:210]
	v_add_f64_e32 v[46:47], v[213:214], v[46:47]
	v_fma_f64 v[213:214], v[56:57], s[16:17], v[126:127]
	v_fma_f64 v[201:202], v[90:91], s[36:37], v[100:101]
	v_add_f64_e32 v[116:117], v[140:141], v[116:117]
	v_fma_f64 v[140:141], v[90:91], s[50:51], v[112:113]
	v_fma_f64 v[247:248], v[48:49], s[12:13], -v[243:244]
	v_add_f64_e32 v[16:17], v[16:17], v[108:109]
	v_fma_f64 v[203:204], v[90:91], s[46:47], v[203:204]
	v_fma_f64 v[195:196], v[48:49], s[16:17], v[195:196]
	;; [unrolled: 1-line block ×4, first 2 shown]
	v_add_f64_e32 v[155:156], v[159:160], v[155:156]
	v_add_f64_e32 v[159:160], v[165:166], v[161:162]
	;; [unrolled: 1-line block ×10, first 2 shown]
	v_fma_f64 v[14:15], v[90:91], s[22:23], v[239:240]
	v_add_f64_e32 v[18:19], v[18:19], v[175:176]
	v_fma_f64 v[138:139], v[48:49], s[12:13], v[243:244]
	v_fma_f64 v[100:101], v[90:91], s[24:25], v[100:101]
	;; [unrolled: 1-line block ×3, first 2 shown]
	v_add_f64_e32 v[163:164], v[181:182], v[169:170]
	v_fma_f64 v[142:143], v[52:53], s[14:15], -v[142:143]
	v_fma_f64 v[90:91], v[90:91], s[48:49], v[94:95]
	v_add_f64_e32 v[60:61], v[60:61], v[62:63]
	v_fma_f64 v[48:49], v[48:49], s[14:15], v[50:51]
	v_add_f64_e32 v[40:41], v[44:45], v[40:41]
	v_mul_f64_e32 v[151:152], s[14:15], v[88:89]
	v_mul_f64_e32 v[235:236], s[10:11], v[88:89]
	v_fma_f64 v[147:148], v[52:53], s[16:17], -v[118:119]
	v_add_f64_e32 v[32:33], v[249:250], v[32:33]
	v_mul_f64_e32 v[149:150], s[38:39], v[58:59]
	v_add_f64_e32 v[110:111], v[191:192], v[110:111]
	v_fma_f64 v[165:166], v[52:53], s[2:3], -v[225:226]
	v_mul_f64_e32 v[167:168], s[18:19], v[88:89]
	v_mul_f64_e32 v[169:170], s[24:25], v[58:59]
	v_add_f64_e32 v[34:35], v[179:180], v[34:35]
	v_mul_f64_e32 v[177:178], s[44:45], v[88:89]
	v_mul_f64_e32 v[179:180], s[50:51], v[58:59]
	v_add_f64_e32 v[10:11], v[183:184], v[10:11]
	v_fma_f64 v[181:182], v[86:87], s[52:53], v[92:93]
	v_mul_f64_e32 v[88:89], s[0:1], v[88:89]
	v_add_f64_e32 v[8:9], v[157:158], v[8:9]
	v_fma_f64 v[157:158], v[52:53], s[44:45], -v[54:55]
	v_mul_f64_e32 v[58:59], s[42:43], v[58:59]
	v_add_f64_e32 v[30:31], v[229:230], v[30:31]
	v_fma_f64 v[229:230], v[86:87], s[34:35], v[122:123]
	v_add_f64_e32 v[28:29], v[114:115], v[28:29]
	v_fma_f64 v[114:115], v[56:57], s[14:15], -v[211:212]
	v_add_f64_e32 v[96:97], v[213:214], v[96:97]
	v_fma_f64 v[213:214], v[76:77], s[26:27], v[231:232]
	v_fma_f64 v[108:109], v[86:87], s[20:21], v[185:186]
	v_add_f64_e32 v[42:43], v[201:202], v[42:43]
	v_add_f64_e32 v[38:39], v[140:141], v[38:39]
	v_fma_f64 v[140:141], v[86:87], s[40:41], v[223:224]
	v_add_f64_e32 v[16:17], v[247:248], v[16:17]
	v_fma_f64 v[171:172], v[86:87], s[28:29], v[144:145]
	v_fma_f64 v[175:176], v[52:53], s[10:11], -v[187:188]
	v_add_f64_e32 v[153:154], v[203:204], v[153:154]
	v_fma_f64 v[122:123], v[86:87], s[22:23], v[122:123]
	v_add_f64_e32 v[155:156], v[195:196], v[155:156]
	v_fma_f64 v[183:184], v[52:53], s[12:13], v[209:210]
	v_add_f64_e32 v[24:25], v[24:25], v[36:37]
	v_fma_f64 v[36:37], v[52:53], s[16:17], v[118:119]
	v_add_f64_e32 v[44:45], v[112:113], v[161:162]
	v_fma_f64 v[50:51], v[86:87], s[26:27], v[223:224]
	v_add_f64_e32 v[12:13], v[14:15], v[12:13]
	v_fma_f64 v[14:15], v[86:87], s[38:39], v[144:145]
	v_add_f64_e32 v[18:19], v[138:139], v[18:19]
	v_fma_f64 v[118:119], v[52:53], s[10:11], v[187:188]
	v_add_f64_e32 v[100:101], v[100:101], v[159:160]
	v_fma_f64 v[62:63], v[86:87], s[46:47], v[185:186]
	v_add_f64_e32 v[94:95], v[251:252], v[163:164]
	v_fma_f64 v[112:113], v[52:53], s[2:3], v[225:226]
	v_mul_f64_e32 v[207:208], s[34:35], v[66:67]
	v_add_f64_e32 v[22:23], v[142:143], v[22:23]
	v_fma_f64 v[205:206], v[56:57], s[2:3], -v[205:206]
	v_fma_f64 v[86:87], v[86:87], s[50:51], v[92:93]
	v_add_f64_e32 v[60:61], v[90:91], v[60:61]
	v_fma_f64 v[52:53], v[52:53], s[44:45], v[54:55]
	v_add_f64_e32 v[40:41], v[48:49], v[40:41]
	v_mul_f64_e32 v[219:220], s[52:53], v[66:67]
	v_mul_f64_e32 v[136:137], s[18:19], v[84:85]
	;; [unrolled: 1-line block ×3, first 2 shown]
	v_fma_f64 v[126:127], v[56:57], s[16:17], -v[126:127]
	v_add_f64_e32 v[32:33], v[147:148], v[32:33]
	v_fma_f64 v[147:148], v[56:57], s[10:11], -v[149:150]
	v_mul_f64_e32 v[159:160], s[0:1], v[84:85]
	v_mul_f64_e32 v[161:162], s[6:7], v[66:67]
	v_add_f64_e32 v[110:111], v[165:166], v[110:111]
	v_fma_f64 v[163:164], v[56:57], s[18:19], -v[169:170]
	v_mul_f64_e32 v[165:166], s[14:15], v[84:85]
	v_mul_f64_e32 v[185:186], s[30:31], v[66:67]
	;; [unrolled: 1-line block ×3, first 2 shown]
	v_add_f64_e32 v[10:11], v[181:182], v[10:11]
	v_fma_f64 v[181:182], v[82:83], s[42:43], v[88:89]
	v_mul_f64_e32 v[84:85], s[10:11], v[84:85]
	v_add_f64_e32 v[8:9], v[157:158], v[8:9]
	v_fma_f64 v[48:49], v[56:57], s[0:1], -v[58:59]
	v_mul_f64_e32 v[54:55], s[38:39], v[66:67]
	v_add_f64_e32 v[30:31], v[229:230], v[30:31]
	v_fma_f64 v[229:230], v[82:83], s[48:49], v[151:152]
	v_add_f64_e32 v[28:29], v[114:115], v[28:29]
	v_add_f64_e32 v[114:115], v[213:214], v[189:190]
	;; [unrolled: 1-line block ×3, first 2 shown]
	v_fma_f64 v[108:109], v[82:83], s[38:39], v[235:236]
	v_add_f64_e32 v[38:39], v[140:141], v[38:39]
	v_fma_f64 v[140:141], v[82:83], s[24:25], v[167:168]
	v_add_f64_e32 v[34:35], v[171:172], v[34:35]
	v_add_f64_e32 v[16:17], v[175:176], v[16:17]
	v_fma_f64 v[171:172], v[82:83], s[50:51], v[177:178]
	v_fma_f64 v[175:176], v[56:57], s[44:45], -v[179:180]
	v_mul_f64_e32 v[189:190], s[46:47], v[66:67]
	v_fma_f64 v[193:194], v[82:83], s[26:27], v[193:194]
	v_fma_f64 v[98:99], v[82:83], s[34:35], v[98:99]
	v_add_f64_e32 v[66:67], v[122:123], v[153:154]
	v_add_f64_e32 v[90:91], v[183:184], v[155:156]
	;; [unrolled: 1-line block ×6, first 2 shown]
	v_fma_f64 v[18:19], v[82:83], s[30:31], v[151:152]
	v_fma_f64 v[50:51], v[56:57], s[14:15], v[211:212]
	v_add_f64_e32 v[62:63], v[62:63], v[100:101]
	v_add_f64_e32 v[44:45], v[112:113], v[94:95]
	v_fma_f64 v[92:93], v[82:83], s[28:29], v[235:236]
	v_fma_f64 v[94:95], v[56:57], s[10:11], v[149:150]
	v_fma_f64 v[100:101], v[82:83], s[36:37], v[167:168]
	v_fma_f64 v[112:113], v[56:57], s[18:19], v[169:170]
	v_fma_f64 v[118:119], v[82:83], s[52:53], v[177:178]
	v_fma_f64 v[122:123], v[56:57], s[44:45], v[179:180]
	v_fma_f64 v[221:222], v[64:65], s[12:13], v[207:208]
	v_fma_f64 v[207:208], v[64:65], s[12:13], -v[207:208]
	v_add_f64_e32 v[22:23], v[205:206], v[22:23]
	v_fma_f64 v[82:83], v[82:83], s[6:7], v[88:89]
	v_add_f64_e32 v[60:61], v[86:87], v[60:61]
	v_fma_f64 v[56:57], v[56:57], s[0:1], v[58:59]
	v_add_f64_e32 v[40:41], v[52:53], v[40:41]
	v_mul_f64_e32 v[132:133], s[14:15], v[78:79]
	v_mul_f64_e32 v[134:135], s[48:49], v[80:81]
	;; [unrolled: 1-line block ×6, first 2 shown]
	v_fma_f64 v[227:228], v[64:65], s[44:45], v[219:220]
	v_fma_f64 v[219:220], v[64:65], s[44:45], -v[219:220]
	v_add_f64_e32 v[46:47], v[126:127], v[46:47]
	v_fma_f64 v[144:145], v[64:65], s[18:19], -v[130:131]
	v_mul_f64_e32 v[149:150], s[0:1], v[78:79]
	v_mul_f64_e32 v[151:152], s[42:43], v[80:81]
	v_add_f64_e32 v[32:33], v[147:148], v[32:33]
	v_fma_f64 v[147:148], v[64:65], s[0:1], -v[161:162]
	v_mul_f64_e32 v[153:154], s[2:3], v[78:79]
	v_mul_f64_e32 v[155:156], s[40:41], v[80:81]
	;; [unrolled: 4-line block ×3, first 2 shown]
	v_mul_f64_e32 v[86:87], s[18:19], v[78:79]
	v_mul_f64_e32 v[88:89], s[36:37], v[80:81]
	v_add_f64_e32 v[10:11], v[181:182], v[10:11]
	v_fma_f64 v[169:170], v[76:77], s[38:39], v[84:85]
	v_add_f64_e32 v[8:9], v[48:49], v[8:9]
	v_fma_f64 v[48:49], v[64:65], s[10:11], -v[54:55]
	v_mul_f64_e32 v[78:79], s[12:13], v[78:79]
	v_mul_f64_e32 v[80:81], s[34:35], v[80:81]
	v_add_f64_e32 v[30:31], v[229:230], v[30:31]
	v_fma_f64 v[138:139], v[76:77], s[24:25], v[136:137]
	v_add_f64_e32 v[42:43], v[108:109], v[42:43]
	v_fma_f64 v[108:109], v[76:77], s[6:7], v[159:160]
	;; [unrolled: 2-line block ×3, first 2 shown]
	v_add_f64_e32 v[34:35], v[171:172], v[34:35]
	v_add_f64_e32 v[16:17], v[175:176], v[16:17]
	v_fma_f64 v[52:53], v[76:77], s[46:47], v[187:188]
	v_fma_f64 v[58:59], v[64:65], s[16:17], -v[189:190]
	v_fma_f64 v[197:198], v[76:77], s[34:35], v[197:198]
	v_add_f64_e32 v[26:27], v[193:194], v[26:27]
	v_fma_f64 v[231:232], v[76:77], s[40:41], v[231:232]
	v_fma_f64 v[233:234], v[64:65], s[2:3], -v[233:234]
	v_add_f64_e32 v[98:99], v[98:99], v[102:103]
	v_fma_f64 v[217:218], v[76:77], s[52:53], v[217:218]
	v_add_f64_e32 v[18:19], v[18:19], v[66:67]
	v_add_f64_e32 v[50:51], v[50:51], v[90:91]
	v_fma_f64 v[66:67], v[76:77], s[36:37], v[136:137]
	v_fma_f64 v[90:91], v[64:65], s[18:19], v[130:131]
	v_add_f64_e32 v[62:63], v[92:93], v[62:63]
	v_add_f64_e32 v[24:25], v[94:95], v[24:25]
	;; [unrolled: 1-line block ×6, first 2 shown]
	v_fma_f64 v[92:93], v[76:77], s[42:43], v[159:160]
	v_fma_f64 v[94:95], v[64:65], s[0:1], v[161:162]
	;; [unrolled: 1-line block ×6, first 2 shown]
	v_add_f64_e32 v[159:160], v[207:208], v[22:23]
	v_fma_f64 v[22:23], v[76:77], s[28:29], v[84:85]
	v_add_f64_e32 v[60:61], v[82:83], v[60:61]
	v_fma_f64 v[54:55], v[64:65], s[10:11], v[54:55]
	;; [unrolled: 2-line block ×3, first 2 shown]
	v_fma_f64 v[134:135], v[74:75], s[14:15], -v[134:135]
	v_add_f64_e32 v[46:47], v[219:220], v[46:47]
	v_add_f64_e32 v[28:29], v[144:145], v[28:29]
	;; [unrolled: 1-line block ×6, first 2 shown]
	v_fma_f64 v[147:148], v[72:73], s[34:35], v[78:79]
	v_fma_f64 v[157:158], v[74:75], s[12:13], -v[80:81]
	v_add_f64_e32 v[30:31], v[138:139], v[30:31]
	v_add_f64_e32 v[42:43], v[108:109], v[42:43]
	v_fma_f64 v[76:77], v[72:73], s[40:41], v[153:154]
	v_add_f64_e32 v[38:39], v[140:141], v[38:39]
	v_add_f64_e32 v[52:53], v[52:53], v[34:35]
	;; [unrolled: 1-line block ×3, first 2 shown]
	v_fma_f64 v[138:139], v[72:73], s[36:37], v[86:87]
	v_fma_f64 v[140:141], v[74:75], s[18:19], -v[88:89]
	v_fma_f64 v[108:109], v[72:73], s[38:39], v[163:164]
	v_fma_f64 v[110:111], v[74:75], s[10:11], -v[167:168]
	v_fma_f64 v[82:83], v[74:75], s[2:3], -v[155:156]
	v_fma_f64 v[56:57], v[72:73], s[42:43], v[149:150]
	v_fma_f64 v[64:65], v[74:75], s[0:1], -v[151:152]
	v_fma_f64 v[136:137], v[74:75], s[16:17], v[128:129]
	v_add_f64_e32 v[26:27], v[197:198], v[26:27]
	v_fma_f64 v[161:162], v[72:73], s[46:47], v[173:174]
	v_fma_f64 v[128:129], v[74:75], s[16:17], -v[128:129]
	v_fma_f64 v[126:127], v[72:73], s[50:51], v[237:238]
	v_fma_f64 v[102:103], v[74:75], s[44:45], v[245:246]
	;; [unrolled: 1-line block ×3, first 2 shown]
	v_fma_f64 v[245:246], v[74:75], s[44:45], -v[245:246]
	v_add_f64_e32 v[98:99], v[231:232], v[98:99]
	v_add_f64_e32 v[116:117], v[233:234], v[116:117]
	v_fma_f64 v[142:143], v[72:73], s[30:31], v[132:133]
	v_fma_f64 v[132:133], v[72:73], s[48:49], v[132:133]
	v_add_f64_e32 v[106:107], v[217:218], v[106:107]
	v_add_f64_e32 v[96:97], v[227:228], v[96:97]
	;; [unrolled: 1-line block ×3, first 2 shown]
	v_fma_f64 v[130:131], v[72:73], s[20:21], v[173:174]
	v_add_f64_e32 v[66:67], v[66:67], v[18:19]
	v_add_f64_e32 v[90:91], v[90:91], v[50:51]
	v_fma_f64 v[50:51], v[72:73], s[6:7], v[149:150]
	v_fma_f64 v[151:152], v[74:75], s[0:1], v[151:152]
	v_add_f64_e32 v[62:63], v[92:93], v[62:63]
	v_add_f64_e32 v[92:93], v[94:95], v[24:25]
	;; [unrolled: 1-line block ×6, first 2 shown]
	v_fma_f64 v[122:123], v[72:73], s[26:27], v[153:154]
	v_fma_f64 v[153:154], v[74:75], s[2:3], v[155:156]
	;; [unrolled: 1-line block ×6, first 2 shown]
	v_add_f64_e32 v[155:156], v[22:23], v[60:61]
	v_fma_f64 v[60:61], v[74:75], s[18:19], v[88:89]
	v_fma_f64 v[74:75], v[74:75], s[12:13], v[80:81]
	v_add_f64_e32 v[80:81], v[54:55], v[40:41]
	v_add_f64_e32 v[2:3], v[6:7], v[2:3]
	;; [unrolled: 1-line block ×35, first 2 shown]
	ds_store_b128 v69, v[0:3]
	ds_store_b128 v69, v[44:47] offset:16
	ds_store_b128 v69, v[40:43] offset:32
	;; [unrolled: 1-line block ×16, first 2 shown]
.LBB0_13:
	s_or_b32 exec_lo, exec_lo, s33
	v_add_nc_u32_e32 v4, 0x99, v68
	v_and_b32_e32 v5, 0xff, v68
	v_add_nc_u32_e32 v0, 0x132, v68
	v_add_nc_u32_e32 v1, 0x1cb, v68
	global_wb scope:SCOPE_SE
	s_wait_dscnt 0x0
	v_and_b32_e32 v10, 0xffff, v4
	v_mul_lo_u16 v3, 0xf1, v5
	v_and_b32_e32 v2, 0xffff, v0
	s_barrier_signal -1
	s_barrier_wait -1
	v_mul_u32_u24_e32 v7, 0xf0f1, v10
	v_lshrrev_b16 v6, 12, v3
	v_and_b32_e32 v3, 0xffff, v1
	v_mul_u32_u24_e32 v8, 0xf0f1, v2
	global_inv scope:SCOPE_SE
	v_lshrrev_b32_e32 v15, 20, v7
	v_mul_lo_u16 v9, v6, 17
	v_mul_u32_u24_e32 v11, 0xf0f1, v3
	v_lshrrev_b32_e32 v7, 20, v8
	s_mov_b32 s2, 0xe8584caa
	v_mul_lo_u16 v8, v15, 17
	v_sub_nc_u16 v9, v68, v9
	v_lshrrev_b32_e32 v12, 20, v11
	v_mul_lo_u16 v11, v7, 17
	s_mov_b32 s3, 0x3febb67a
	v_sub_nc_u16 v8, v4, v8
	v_and_b32_e32 v9, 0xff, v9
	v_mul_lo_u16 v13, v12, 17
	v_sub_nc_u16 v11, v0, v11
	s_mov_b32 s7, 0xbfebb67a
	v_and_b32_e32 v8, 0xffff, v8
	v_lshlrev_b32_e32 v14, 5, v9
	v_sub_nc_u16 v24, v1, v13
	v_and_b32_e32 v13, 0xffff, v11
	s_wait_alu 0xfffe
	s_mov_b32 s6, s2
	v_lshlrev_b32_e32 v11, 5, v8
	s_clause 0x1
	global_load_b128 v[16:19], v14, s[4:5]
	global_load_b128 v[20:23], v14, s[4:5] offset:16
	v_and_b32_e32 v14, 0xffff, v24
	v_lshlrev_b32_e32 v36, 5, v13
	v_mul_u32_u24_e32 v107, 0x330, v15
	s_clause 0x1
	global_load_b128 v[24:27], v11, s[4:5]
	global_load_b128 v[28:31], v11, s[4:5] offset:16
	v_mul_lo_u16 v5, 0xa1, v5
	v_lshlrev_b32_e32 v11, 5, v14
	s_clause 0x3
	global_load_b128 v[32:35], v36, s[4:5]
	global_load_b128 v[36:39], v36, s[4:5] offset:16
	global_load_b128 v[40:43], v11, s[4:5]
	global_load_b128 v[44:47], v11, s[4:5] offset:16
	ds_load_b128 v[48:51], v146 offset:9792
	ds_load_b128 v[52:55], v146 offset:19584
	;; [unrolled: 1-line block ×8, first 2 shown]
	v_mul_u32_u24_e32 v10, 0xa0a1, v10
	v_lshrrev_b16 v5, 13, v5
	v_mul_u32_u24_e32 v11, 0xa0a1, v2
	v_lshlrev_b32_e32 v9, 4, v9
	v_lshlrev_b32_e32 v8, 4, v8
	v_lshrrev_b32_e32 v10, 21, v10
	v_mul_lo_u16 v69, v5, 51
	v_lshrrev_b32_e32 v11, 21, v11
	v_lshlrev_b32_e32 v13, 4, v13
	v_lshlrev_b32_e32 v14, 4, v14
	v_add3_u32 v8, 0, v107, v8
	v_mul_u32_u24_e32 v107, 0x358b, v2
	v_and_b32_e32 v5, 0xffff, v5
	s_delay_alu instid0(VALU_DEP_1)
	v_mul_u32_u24_e32 v5, 0x990, v5
	s_wait_loadcnt_dscnt 0x707
	v_mul_f64_e32 v[84:85], v[50:51], v[18:19]
	v_mul_f64_e32 v[18:19], v[48:49], v[18:19]
	s_wait_loadcnt_dscnt 0x606
	v_mul_f64_e32 v[86:87], v[54:55], v[22:23]
	v_mul_f64_e32 v[22:23], v[52:53], v[22:23]
	;; [unrolled: 3-line block ×8, first 2 shown]
	v_fma_f64 v[48:49], v[48:49], v[16:17], -v[84:85]
	v_fma_f64 v[50:51], v[50:51], v[16:17], v[18:19]
	v_fma_f64 v[52:53], v[52:53], v[20:21], -v[86:87]
	v_fma_f64 v[54:55], v[54:55], v[20:21], v[22:23]
	;; [unrolled: 2-line block ×8, first 2 shown]
	ds_load_b128 v[16:19], v146
	ds_load_b128 v[20:23], v146 offset:2448
	ds_load_b128 v[24:27], v146 offset:4896
	;; [unrolled: 1-line block ×3, first 2 shown]
	global_wb scope:SCOPE_SE
	s_wait_dscnt 0x0
	s_barrier_signal -1
	s_barrier_wait -1
	global_inv scope:SCOPE_SE
	v_add_f64_e32 v[84:85], v[16:17], v[48:49]
	v_add_f64_e32 v[46:47], v[48:49], v[52:53]
	;; [unrolled: 1-line block ×3, first 2 shown]
	v_add_f64_e64 v[86:87], v[50:51], -v[54:55]
	v_add_f64_e32 v[50:51], v[18:19], v[50:51]
	v_add_f64_e32 v[72:73], v[56:57], v[60:61]
	;; [unrolled: 1-line block ×4, first 2 shown]
	v_add_f64_e64 v[48:49], v[48:49], -v[52:53]
	v_add_f64_e32 v[76:77], v[64:65], v[34:35]
	v_add_f64_e32 v[78:79], v[32:33], v[36:37]
	;; [unrolled: 1-line block ×8, first 2 shown]
	v_add_f64_e64 v[58:59], v[58:59], -v[62:63]
	v_add_f64_e64 v[56:57], v[56:57], -v[60:61]
	v_add_f64_e32 v[98:99], v[30:31], v[40:41]
	v_add_f64_e64 v[100:101], v[32:33], -v[36:37]
	v_add_f64_e64 v[64:65], v[64:65], -v[34:35]
	;; [unrolled: 1-line block ×4, first 2 shown]
	v_fma_f64 v[46:47], v[46:47], -0.5, v[16:17]
	v_fma_f64 v[66:67], v[66:67], -0.5, v[18:19]
	v_mul_u32_u24_e32 v16, 0xa0a1, v3
	v_and_b32_e32 v17, 0xffff, v6
	v_fma_f64 v[72:73], v[72:73], -0.5, v[20:21]
	v_fma_f64 v[74:75], v[74:75], -0.5, v[22:23]
	s_delay_alu instid0(VALU_DEP_4)
	v_lshrrev_b32_e32 v6, 21, v16
	v_fma_f64 v[76:77], v[76:77], -0.5, v[24:25]
	v_fma_f64 v[78:79], v[78:79], -0.5, v[26:27]
	v_mul_u32_u24_e32 v106, 0x330, v17
	v_add_f64_e32 v[15:16], v[84:85], v[52:53]
	v_fma_f64 v[80:81], v[80:81], -0.5, v[28:29]
	v_fma_f64 v[82:83], v[82:83], -0.5, v[30:31]
	v_add_f64_e32 v[17:18], v[50:51], v[54:55]
	v_add_f64_e32 v[23:24], v[92:93], v[34:35]
	;; [unrolled: 1-line block ×7, first 2 shown]
	v_mul_u32_u24_e32 v63, 0x330, v7
	v_sub_nc_u16 v7, v68, v69
	v_mov_b32_e32 v69, 0
	v_add3_u32 v9, 0, v106, v9
	s_delay_alu instid0(VALU_DEP_4) | instskip(NEXT) | instid1(VALU_DEP_4)
	v_add3_u32 v13, 0, v63, v13
	v_and_b32_e32 v7, 0xff, v7
	v_fma_f64 v[31:32], v[86:87], s[2:3], v[46:47]
	s_wait_alu 0xfffe
	v_fma_f64 v[33:34], v[48:49], s[6:7], v[66:67]
	v_fma_f64 v[35:36], v[86:87], s[6:7], v[46:47]
	;; [unrolled: 1-line block ×15, first 2 shown]
	v_mul_lo_u16 v64, v10, 51
	v_mul_lo_u16 v65, v11, 51
	v_mul_u32_u24_e32 v66, 0x330, v12
	v_mul_lo_u16 v12, v6, 51
	v_lshlrev_b32_e32 v67, 5, v7
	v_sub_nc_u16 v4, v4, v64
	v_sub_nc_u16 v64, v0, v65
	v_add3_u32 v14, 0, v66, v14
	v_sub_nc_u16 v65, v1, v12
	v_add_nc_u32_e32 v104, 0x264, v68
	v_and_b32_e32 v4, 0xffff, v4
	v_and_b32_e32 v12, 0xffff, v64
	v_add_nc_u32_e32 v105, 0x2fd, v68
	v_lshlrev_b32_e32 v7, 4, v7
	v_mul_u32_u24_e32 v10, 0x990, v10
	v_lshlrev_b32_e32 v64, 5, v4
	v_lshlrev_b32_e32 v4, 4, v4
	v_and_b32_e32 v106, 0xffff, v105
	v_mul_u32_u24_e32 v11, 0x990, v11
	v_mul_u32_u24_e32 v6, 0x990, v6
	v_add3_u32 v5, 0, v5, v7
	ds_store_b128 v9, v[15:18]
	ds_store_b128 v9, v[31:34] offset:272
	ds_store_b128 v9, v[35:38] offset:544
	ds_store_b128 v8, v[19:22]
	ds_store_b128 v8, v[39:42] offset:272
	ds_store_b128 v8, v[43:46] offset:544
	ds_store_b128 v13, v[23:26]
	ds_store_b128 v13, v[47:50] offset:272
	ds_store_b128 v13, v[51:54] offset:544
	ds_store_b128 v14, v[27:30]
	ds_store_b128 v14, v[55:58] offset:272
	ds_store_b128 v14, v[59:62] offset:544
	global_wb scope:SCOPE_SE
	s_wait_dscnt 0x0
	s_barrier_signal -1
	s_barrier_wait -1
	global_inv scope:SCOPE_SE
	s_clause 0x1
	global_load_b128 v[14:17], v67, s[4:5] offset:544
	global_load_b128 v[18:21], v67, s[4:5] offset:560
	v_and_b32_e32 v13, 0xffff, v65
	v_lshlrev_b32_e32 v8, 5, v12
	s_clause 0x1
	global_load_b128 v[22:25], v64, s[4:5] offset:544
	global_load_b128 v[26:29], v64, s[4:5] offset:560
	v_lshlrev_b32_e32 v12, 4, v12
	v_lshlrev_b32_e32 v9, 5, v13
	s_clause 0x3
	global_load_b128 v[30:33], v8, s[4:5] offset:544
	global_load_b128 v[34:37], v8, s[4:5] offset:560
	;; [unrolled: 1-line block ×4, first 2 shown]
	ds_load_b128 v[46:49], v146 offset:9792
	ds_load_b128 v[50:53], v146 offset:19584
	ds_load_b128 v[54:57], v146 offset:12240
	ds_load_b128 v[58:61], v146 offset:22032
	ds_load_b128 v[62:65], v146 offset:14688
	ds_load_b128 v[72:75], v146 offset:24480
	ds_load_b128 v[76:79], v146 offset:17136
	ds_load_b128 v[80:83], v146 offset:26928
	v_lshlrev_b32_e32 v13, 4, v13
	s_delay_alu instid0(VALU_DEP_1)
	v_add3_u32 v6, 0, v6, v13
	s_wait_loadcnt_dscnt 0x707
	v_mul_f64_e32 v[8:9], v[48:49], v[16:17]
	v_mul_f64_e32 v[16:17], v[46:47], v[16:17]
	s_wait_loadcnt_dscnt 0x606
	v_mul_f64_e32 v[66:67], v[52:53], v[20:21]
	v_mul_f64_e32 v[20:21], v[50:51], v[20:21]
	;; [unrolled: 3-line block ×8, first 2 shown]
	v_fma_f64 v[46:47], v[46:47], v[14:15], -v[8:9]
	v_fma_f64 v[48:49], v[48:49], v[14:15], v[16:17]
	v_fma_f64 v[50:51], v[50:51], v[18:19], -v[66:67]
	v_fma_f64 v[52:53], v[52:53], v[18:19], v[20:21]
	;; [unrolled: 2-line block ×8, first 2 shown]
	ds_load_b128 v[14:17], v146
	ds_load_b128 v[18:21], v146 offset:2448
	ds_load_b128 v[22:25], v146 offset:4896
	;; [unrolled: 1-line block ×3, first 2 shown]
	v_lshlrev_b64_e32 v[8:9], 4, v[68:69]
	v_and_b32_e32 v69, 0xffff, v104
	global_wb scope:SCOPE_SE
	s_wait_dscnt 0x0
	s_barrier_signal -1
	s_barrier_wait -1
	global_inv scope:SCOPE_SE
	v_add_co_u32 v2, s0, s4, v8
	v_add_f64_e32 v[82:83], v[14:15], v[46:47]
	v_add_f64_e32 v[44:45], v[46:47], v[50:51]
	;; [unrolled: 1-line block ×3, first 2 shown]
	v_add_f64_e64 v[84:85], v[48:49], -v[52:53]
	v_add_f64_e32 v[48:49], v[16:17], v[48:49]
	v_add_f64_e32 v[66:67], v[54:55], v[58:59]
	;; [unrolled: 1-line block ×4, first 2 shown]
	v_add_f64_e64 v[46:47], v[46:47], -v[50:51]
	v_add_f64_e32 v[74:75], v[62:63], v[32:33]
	v_add_f64_e32 v[76:77], v[30:31], v[34:35]
	;; [unrolled: 1-line block ×8, first 2 shown]
	v_add_f64_e64 v[56:57], v[56:57], -v[60:61]
	v_add_f64_e64 v[54:55], v[54:55], -v[58:59]
	v_add_f64_e32 v[96:97], v[28:29], v[38:39]
	v_add_f64_e64 v[98:99], v[30:31], -v[34:35]
	v_add_f64_e64 v[62:63], v[62:63], -v[32:33]
	;; [unrolled: 1-line block ×4, first 2 shown]
	v_fma_f64 v[44:45], v[44:45], -0.5, v[14:15]
	v_fma_f64 v[64:65], v[64:65], -0.5, v[16:17]
	v_mul_u32_u24_e32 v14, 0x358b, v3
	v_mul_u32_u24_e32 v15, 0x358b, v69
	v_fma_f64 v[66:67], v[66:67], -0.5, v[18:19]
	v_fma_f64 v[72:73], v[72:73], -0.5, v[20:21]
	v_mul_u32_u24_e32 v16, 0x358b, v106
	v_lshrrev_b32_e32 v69, 21, v107
	v_fma_f64 v[74:75], v[74:75], -0.5, v[22:23]
	v_fma_f64 v[76:77], v[76:77], -0.5, v[24:25]
	v_lshrrev_b32_e32 v106, 21, v14
	v_lshrrev_b32_e32 v107, 21, v15
	v_fma_f64 v[78:79], v[78:79], -0.5, v[26:27]
	v_fma_f64 v[80:81], v[80:81], -0.5, v[28:29]
	v_lshrrev_b32_e32 v108, 21, v16
	v_add_f64_e32 v[14:15], v[82:83], v[50:51]
	v_add_f64_e32 v[16:17], v[48:49], v[52:53]
	;; [unrolled: 1-line block ×8, first 2 shown]
	s_wait_alu 0xf1ff
	v_add_co_ci_u32_e64 v3, s0, s5, v9, s0
	v_cmp_ne_u32_e64 s0, 0, v68
	v_fma_f64 v[30:31], v[84:85], s[2:3], v[44:45]
	v_fma_f64 v[32:33], v[46:47], s[6:7], v[64:65]
	;; [unrolled: 1-line block ×16, first 2 shown]
	v_mul_lo_u16 v62, 0x99, v69
	v_mul_lo_u16 v63, 0x99, v106
	;; [unrolled: 1-line block ×4, first 2 shown]
	s_delay_alu instid0(VALU_DEP_4) | instskip(NEXT) | instid1(VALU_DEP_4)
	v_sub_nc_u16 v0, v0, v62
	v_sub_nc_u16 v1, v1, v63
	s_delay_alu instid0(VALU_DEP_4) | instskip(NEXT) | instid1(VALU_DEP_4)
	v_sub_nc_u16 v62, v104, v64
	v_sub_nc_u16 v63, v105, v65
	s_delay_alu instid0(VALU_DEP_4) | instskip(NEXT) | instid1(VALU_DEP_4)
	v_and_b32_e32 v0, 0xffff, v0
	v_and_b32_e32 v1, 0xffff, v1
	s_delay_alu instid0(VALU_DEP_4) | instskip(NEXT) | instid1(VALU_DEP_4)
	v_and_b32_e32 v62, 0xffff, v62
	v_and_b32_e32 v63, 0xffff, v63
	s_delay_alu instid0(VALU_DEP_4)
	v_lshlrev_b32_e32 v69, 4, v0
	v_add3_u32 v0, 0, v10, v4
	v_add3_u32 v4, 0, v11, v12
	ds_store_b128 v5, v[14:17]
	ds_store_b128 v5, v[30:33] offset:816
	ds_store_b128 v5, v[34:37] offset:1632
	ds_store_b128 v0, v[18:21]
	ds_store_b128 v0, v[38:41] offset:816
	ds_store_b128 v0, v[42:45] offset:1632
	;; [unrolled: 3-line block ×4, first 2 shown]
	global_wb scope:SCOPE_SE
	s_wait_dscnt 0x0
	s_barrier_signal -1
	s_barrier_wait -1
	global_inv scope:SCOPE_SE
	s_clause 0x1
	global_load_b128 v[4:7], v[2:3], off offset:2176
	global_load_b128 v[10:13], v69, s[4:5] offset:2176
	v_lshlrev_b32_e32 v76, 4, v1
	v_lshlrev_b32_e32 v77, 4, v62
	;; [unrolled: 1-line block ×3, first 2 shown]
	s_clause 0x2
	global_load_b128 v[14:17], v76, s[4:5] offset:2176
	global_load_b128 v[18:21], v77, s[4:5] offset:2176
	;; [unrolled: 1-line block ×3, first 2 shown]
	ds_load_b128 v[26:29], v146 offset:14688
	ds_load_b128 v[30:33], v146 offset:17136
	;; [unrolled: 1-line block ×6, first 2 shown]
	s_wait_loadcnt_dscnt 0x405
	v_mul_f64_e32 v[0:1], v[28:29], v[6:7]
	v_mul_f64_e32 v[50:51], v[26:27], v[6:7]
	s_wait_dscnt 0x4
	v_mul_f64_e32 v[52:53], v[32:33], v[6:7]
	v_mul_f64_e32 v[6:7], v[30:31], v[6:7]
	s_wait_loadcnt_dscnt 0x303
	v_mul_f64_e32 v[54:55], v[36:37], v[12:13]
	v_mul_f64_e32 v[12:13], v[34:35], v[12:13]
	s_wait_loadcnt_dscnt 0x202
	;; [unrolled: 3-line block ×4, first 2 shown]
	v_mul_f64_e32 v[60:61], v[48:49], v[24:25]
	v_mul_f64_e32 v[24:25], v[46:47], v[24:25]
	v_fma_f64 v[0:1], v[26:27], v[4:5], -v[0:1]
	v_fma_f64 v[50:51], v[28:29], v[4:5], v[50:51]
	v_fma_f64 v[52:53], v[30:31], v[4:5], -v[52:53]
	v_fma_f64 v[62:63], v[32:33], v[4:5], v[6:7]
	;; [unrolled: 2-line block ×6, first 2 shown]
	ds_load_b128 v[4:7], v146
	ds_load_b128 v[10:13], v146 offset:2448
	ds_load_b128 v[14:17], v146 offset:4896
	;; [unrolled: 1-line block ×5, first 2 shown]
	global_wb scope:SCOPE_SE
	s_wait_dscnt 0x0
	s_barrier_signal -1
	s_barrier_wait -1
	global_inv scope:SCOPE_SE
	v_add_f64_e64 v[30:31], v[4:5], -v[0:1]
	v_add_f64_e64 v[32:33], v[6:7], -v[50:51]
	;; [unrolled: 1-line block ×12, first 2 shown]
	v_mul_u32_u24_e32 v0, 5, v68
	v_add_nc_u32_e32 v1, 0, v69
	v_add_nc_u32_e32 v54, 0, v76
	;; [unrolled: 1-line block ×4, first 2 shown]
	v_lshlrev_b32_e32 v0, 4, v0
	v_fma_f64 v[4:5], v[4:5], 2.0, -v[30:31]
	v_fma_f64 v[6:7], v[6:7], 2.0, -v[32:33]
	;; [unrolled: 1-line block ×12, first 2 shown]
	ds_store_b128 v146, v[4:7]
	ds_store_b128 v146, v[30:33] offset:2448
	ds_store_b128 v146, v[10:13] offset:4896
	;; [unrolled: 1-line block ×11, first 2 shown]
	global_wb scope:SCOPE_SE
	s_wait_dscnt 0x0
	s_barrier_signal -1
	s_barrier_wait -1
	global_inv scope:SCOPE_SE
	s_clause 0x9
	global_load_b128 v[4:7], v0, s[4:5] offset:4656
	global_load_b128 v[10:13], v0, s[4:5] offset:4688
	;; [unrolled: 1-line block ×10, first 2 shown]
	ds_load_b128 v[46:49], v146 offset:14688
	ds_load_b128 v[50:53], v146 offset:24480
	ds_load_b128 v[54:57], v146 offset:17136
	ds_load_b128 v[58:61], v146 offset:26928
	ds_load_b128 v[62:65], v146 offset:4896
	ds_load_b128 v[72:75], v146 offset:7344
	s_wait_loadcnt_dscnt 0x905
	v_mul_f64_e32 v[0:1], v[48:49], v[6:7]
	v_mul_f64_e32 v[6:7], v[46:47], v[6:7]
	s_wait_loadcnt_dscnt 0x804
	v_mul_f64_e32 v[66:67], v[50:51], v[12:13]
	v_mul_f64_e32 v[12:13], v[52:53], v[12:13]
	;; [unrolled: 3-line block ×5, first 2 shown]
	v_fma_f64 v[0:1], v[46:47], v[4:5], -v[0:1]
	v_fma_f64 v[46:47], v[48:49], v[4:5], v[6:7]
	v_fma_f64 v[48:49], v[52:53], v[10:11], v[66:67]
	v_fma_f64 v[50:51], v[50:51], v[10:11], -v[12:13]
	s_wait_loadcnt_dscnt 0x400
	v_mul_f64_e32 v[52:53], v[74:75], v[28:29]
	v_mul_f64_e32 v[28:29], v[72:73], v[28:29]
	v_fma_f64 v[54:55], v[54:55], v[14:15], -v[76:77]
	v_fma_f64 v[56:57], v[56:57], v[14:15], v[16:17]
	v_fma_f64 v[60:61], v[60:61], v[18:19], v[78:79]
	v_fma_f64 v[58:59], v[58:59], v[18:19], -v[20:21]
	ds_load_b128 v[4:7], v146 offset:9792
	ds_load_b128 v[10:13], v146 offset:19584
	;; [unrolled: 1-line block ×4, first 2 shown]
	v_fma_f64 v[62:63], v[62:63], v[22:23], -v[80:81]
	v_fma_f64 v[22:23], v[64:65], v[22:23], v[24:25]
	s_wait_loadcnt_dscnt 0x303
	v_mul_f64_e32 v[66:67], v[6:7], v[32:33]
	v_mul_f64_e32 v[32:33], v[4:5], v[32:33]
	s_wait_loadcnt_dscnt 0x202
	v_mul_f64_e32 v[76:77], v[12:13], v[36:37]
	v_mul_f64_e32 v[36:37], v[10:11], v[36:37]
	s_wait_loadcnt_dscnt 0x101
	v_mul_f64_e32 v[78:79], v[16:17], v[40:41]
	v_mul_f64_e32 v[40:41], v[14:15], v[40:41]
	s_wait_loadcnt_dscnt 0x0
	v_mul_f64_e32 v[80:81], v[20:21], v[44:45]
	v_mul_f64_e32 v[44:45], v[18:19], v[44:45]
	v_add_f64_e32 v[24:25], v[46:47], v[48:49]
	v_add_f64_e32 v[64:65], v[0:1], v[50:51]
	v_fma_f64 v[52:53], v[72:73], v[26:27], -v[52:53]
	v_fma_f64 v[26:27], v[74:75], v[26:27], v[28:29]
	v_add_f64_e32 v[28:29], v[56:57], v[60:61]
	v_add_f64_e32 v[72:73], v[54:55], v[58:59]
	v_fma_f64 v[66:67], v[4:5], v[30:31], -v[66:67]
	v_fma_f64 v[30:31], v[6:7], v[30:31], v[32:33]
	v_fma_f64 v[32:33], v[10:11], v[34:35], -v[76:77]
	v_fma_f64 v[34:35], v[12:13], v[34:35], v[36:37]
	v_add_f64_e64 v[4:5], v[46:47], -v[48:49]
	v_add_f64_e64 v[6:7], v[0:1], -v[50:51]
	v_fma_f64 v[14:15], v[14:15], v[38:39], -v[78:79]
	v_fma_f64 v[16:17], v[16:17], v[38:39], v[40:41]
	v_fma_f64 v[18:19], v[18:19], v[42:43], -v[80:81]
	v_fma_f64 v[20:21], v[20:21], v[42:43], v[44:45]
	v_add_f64_e64 v[36:37], v[54:55], -v[58:59]
	v_add_f64_e32 v[0:1], v[62:63], v[0:1]
	v_fma_f64 v[10:11], v[24:25], -0.5, v[22:23]
	v_fma_f64 v[12:13], v[64:65], -0.5, v[62:63]
	v_add_f64_e64 v[24:25], v[56:57], -v[60:61]
	v_add_f64_e32 v[22:23], v[22:23], v[46:47]
	v_fma_f64 v[28:29], v[28:29], -0.5, v[26:27]
	v_fma_f64 v[38:39], v[72:73], -0.5, v[52:53]
	v_add_f64_e32 v[52:53], v[52:53], v[54:55]
	v_add_f64_e32 v[26:27], v[26:27], v[56:57]
	;; [unrolled: 1-line block ×7, first 2 shown]
	v_fma_f64 v[44:45], v[6:7], s[6:7], v[10:11]
	v_fma_f64 v[72:73], v[4:5], s[2:3], v[12:13]
	;; [unrolled: 1-line block ×4, first 2 shown]
	ds_load_b128 v[4:7], v146
	ds_load_b128 v[10:13], v146 offset:2448
	v_fma_f64 v[80:81], v[36:37], s[6:7], v[28:29]
	v_fma_f64 v[82:83], v[24:25], s[2:3], v[38:39]
	;; [unrolled: 1-line block ×4, first 2 shown]
	v_add_f64_e64 v[38:39], v[30:31], -v[34:35]
	v_add_f64_e32 v[22:23], v[22:23], v[48:49]
	v_add_f64_e32 v[26:27], v[26:27], v[60:61]
	global_wb scope:SCOPE_SE
	s_wait_dscnt 0x0
	s_barrier_signal -1
	s_barrier_wait -1
	global_inv scope:SCOPE_SE
	v_add_f64_e32 v[36:37], v[4:5], v[66:67]
	v_add_f64_e32 v[30:31], v[6:7], v[30:31]
	;; [unrolled: 1-line block ×4, first 2 shown]
	v_fma_f64 v[4:5], v[40:41], -0.5, v[4:5]
	v_add_f64_e64 v[40:41], v[66:67], -v[32:33]
	v_fma_f64 v[6:7], v[42:43], -0.5, v[6:7]
	v_add_f64_e64 v[16:17], v[16:17], -v[20:21]
	v_add_f64_e64 v[14:15], v[14:15], -v[18:19]
	v_fma_f64 v[10:11], v[76:77], -0.5, v[10:11]
	v_fma_f64 v[12:13], v[78:79], -0.5, v[12:13]
	v_mul_f64_e32 v[42:43], s[2:3], v[44:45]
	v_mul_f64_e32 v[56:57], s[6:7], v[72:73]
	v_mul_f64_e32 v[54:55], -0.5, v[64:65]
	v_mul_f64_e32 v[66:67], -0.5, v[74:75]
	v_mul_f64_e32 v[76:77], s[2:3], v[80:81]
	v_mul_f64_e32 v[78:79], s[6:7], v[82:83]
	v_mul_f64_e32 v[84:85], -0.5, v[24:25]
	v_mul_f64_e32 v[86:87], -0.5, v[28:29]
	v_add_f64_e32 v[32:33], v[36:37], v[32:33]
	v_add_f64_e32 v[30:31], v[30:31], v[34:35]
	;; [unrolled: 1-line block ×5, first 2 shown]
	v_fma_f64 v[36:37], v[38:39], s[2:3], v[4:5]
	v_fma_f64 v[46:47], v[40:41], s[6:7], v[6:7]
	;; [unrolled: 1-line block ×6, first 2 shown]
	v_fma_f64 v[42:43], v[72:73], 0.5, v[42:43]
	v_fma_f64 v[44:45], v[44:45], 0.5, v[56:57]
	v_fma_f64 v[48:49], v[74:75], s[2:3], v[54:55]
	v_fma_f64 v[50:51], v[64:65], s[6:7], v[66:67]
	v_fma_f64 v[56:57], v[14:15], s[6:7], v[12:13]
	v_fma_f64 v[54:55], v[16:17], s[6:7], v[10:11]
	v_fma_f64 v[60:61], v[82:83], 0.5, v[76:77]
	v_fma_f64 v[62:63], v[80:81], 0.5, v[78:79]
	v_fma_f64 v[64:65], v[28:29], s[2:3], v[84:85]
	v_fma_f64 v[66:67], v[24:25], s[6:7], v[86:87]
	v_add_f64_e32 v[4:5], v[32:33], v[0:1]
	v_add_f64_e32 v[6:7], v[30:31], v[22:23]
	v_add_f64_e64 v[10:11], v[32:33], -v[0:1]
	v_add_f64_e32 v[16:17], v[20:21], v[26:27]
	v_add_f64_e32 v[14:15], v[18:19], v[34:35]
	v_add_f64_e64 v[12:13], v[30:31], -v[22:23]
	v_add_f64_e64 v[18:19], v[18:19], -v[34:35]
	v_add_f64_e64 v[20:21], v[20:21], -v[26:27]
	v_lshlrev_b32_e32 v0, 4, v68
	v_add_f64_e32 v[22:23], v[36:37], v[42:43]
	v_add_f64_e32 v[24:25], v[46:47], v[44:45]
	;; [unrolled: 1-line block ×4, first 2 shown]
	v_add_f64_e64 v[30:31], v[36:37], -v[42:43]
	v_add_f64_e64 v[34:35], v[38:39], -v[48:49]
	;; [unrolled: 1-line block ×3, first 2 shown]
	v_add_f64_e32 v[38:39], v[52:53], v[60:61]
	v_add_f64_e32 v[40:41], v[56:57], v[62:63]
	v_add_f64_e64 v[32:33], v[46:47], -v[44:45]
	v_add_f64_e32 v[42:43], v[54:55], v[64:65]
	v_add_f64_e32 v[44:45], v[58:59], v[66:67]
	v_add_f64_e64 v[46:47], v[52:53], -v[60:61]
	v_add_f64_e64 v[48:49], v[56:57], -v[62:63]
	;; [unrolled: 1-line block ×4, first 2 shown]
	ds_store_b128 v146, v[4:7]
	ds_store_b128 v146, v[14:17] offset:2448
	ds_store_b128 v146, v[10:13] offset:14688
	;; [unrolled: 1-line block ×11, first 2 shown]
	global_wb scope:SCOPE_SE
	s_wait_dscnt 0x0
	s_barrier_signal -1
	s_barrier_wait -1
	global_inv scope:SCOPE_SE
	ds_load_b128 v[4:7], v146
	v_sub_nc_u32_e32 v14, 0, v0
                                        ; implicit-def: $vgpr0_vgpr1
                                        ; implicit-def: $vgpr10_vgpr11
                                        ; implicit-def: $vgpr12_vgpr13
	s_and_saveexec_b32 s1, s0
	s_wait_alu 0xfffe
	s_xor_b32 s0, exec_lo, s1
	s_cbranch_execz .LBB0_15
; %bb.14:
	global_load_b128 v[15:18], v[2:3], off offset:29104
	ds_load_b128 v[0:3], v14 offset:29376
	s_wait_dscnt 0x0
	v_add_f64_e64 v[10:11], v[4:5], -v[0:1]
	v_add_f64_e32 v[12:13], v[6:7], v[2:3]
	v_add_f64_e64 v[2:3], v[6:7], -v[2:3]
	v_add_f64_e32 v[0:1], v[4:5], v[0:1]
	s_delay_alu instid0(VALU_DEP_4) | instskip(NEXT) | instid1(VALU_DEP_4)
	v_mul_f64_e32 v[6:7], 0.5, v[10:11]
	v_mul_f64_e32 v[4:5], 0.5, v[12:13]
	s_delay_alu instid0(VALU_DEP_4) | instskip(SKIP_1) | instid1(VALU_DEP_3)
	v_mul_f64_e32 v[2:3], 0.5, v[2:3]
	s_wait_loadcnt 0x0
	v_mul_f64_e32 v[10:11], v[6:7], v[17:18]
	s_delay_alu instid0(VALU_DEP_2) | instskip(SKIP_1) | instid1(VALU_DEP_3)
	v_fma_f64 v[12:13], v[4:5], v[17:18], v[2:3]
	v_fma_f64 v[2:3], v[4:5], v[17:18], -v[2:3]
	v_fma_f64 v[19:20], v[0:1], 0.5, v[10:11]
	v_fma_f64 v[0:1], v[0:1], 0.5, -v[10:11]
	s_delay_alu instid0(VALU_DEP_4) | instskip(NEXT) | instid1(VALU_DEP_4)
	v_fma_f64 v[12:13], -v[15:16], v[6:7], v[12:13]
	v_fma_f64 v[2:3], -v[15:16], v[6:7], v[2:3]
	s_delay_alu instid0(VALU_DEP_4) | instskip(NEXT) | instid1(VALU_DEP_4)
	v_fma_f64 v[10:11], v[4:5], v[15:16], v[19:20]
	v_fma_f64 v[0:1], -v[4:5], v[15:16], v[0:1]
                                        ; implicit-def: $vgpr4_vgpr5
.LBB0_15:
	s_wait_alu 0xfffe
	s_and_not1_saveexec_b32 s0, s0
	s_cbranch_execz .LBB0_17
; %bb.16:
	s_wait_dscnt 0x0
	v_add_f64_e32 v[10:11], v[4:5], v[6:7]
	v_add_f64_e64 v[0:1], v[4:5], -v[6:7]
	v_mov_b32_e32 v6, 0
	v_mov_b32_e32 v12, 0
	;; [unrolled: 1-line block ×3, first 2 shown]
	s_delay_alu instid0(VALU_DEP_2)
	v_mov_b32_e32 v2, v12
	ds_load_b64 v[4:5], v6 offset:14696
	v_mov_b32_e32 v3, v13
	s_wait_dscnt 0x0
	v_xor_b32_e32 v5, 0x80000000, v5
	ds_store_b64 v6, v[4:5] offset:14696
.LBB0_17:
	s_wait_alu 0xfffe
	s_or_b32 exec_lo, exec_lo, s0
	s_add_nc_u64 s[0:1], s[4:5], 0x71b0
	s_wait_alu 0xfffe
	v_add_co_u32 v19, s0, s0, v8
	s_wait_alu 0xf1ff
	v_add_co_ci_u32_e64 v20, s0, s1, v9, s0
	s_wait_dscnt 0x0
	s_clause 0x1
	global_load_b128 v[4:7], v[19:20], off offset:2448
	global_load_b128 v[15:18], v[19:20], off offset:4896
	ds_store_2addr_b64 v146, v[10:11], v[12:13] offset1:1
	ds_store_b128 v14, v[0:3] offset:29376
	ds_load_b128 v[0:3], v146 offset:2448
	ds_load_b128 v[10:13], v14 offset:26928
	s_wait_dscnt 0x0
	v_add_f64_e64 v[21:22], v[0:1], -v[10:11]
	v_add_f64_e32 v[23:24], v[2:3], v[12:13]
	v_add_f64_e64 v[2:3], v[2:3], -v[12:13]
	v_add_f64_e32 v[0:1], v[0:1], v[10:11]
	s_delay_alu instid0(VALU_DEP_4) | instskip(NEXT) | instid1(VALU_DEP_4)
	v_mul_f64_e32 v[12:13], 0.5, v[21:22]
	v_mul_f64_e32 v[21:22], 0.5, v[23:24]
	s_delay_alu instid0(VALU_DEP_4) | instskip(SKIP_1) | instid1(VALU_DEP_3)
	v_mul_f64_e32 v[2:3], 0.5, v[2:3]
	s_wait_loadcnt 0x1
	v_mul_f64_e32 v[10:11], v[12:13], v[6:7]
	s_delay_alu instid0(VALU_DEP_2) | instskip(SKIP_1) | instid1(VALU_DEP_3)
	v_fma_f64 v[23:24], v[21:22], v[6:7], v[2:3]
	v_fma_f64 v[2:3], v[21:22], v[6:7], -v[2:3]
	v_fma_f64 v[6:7], v[0:1], 0.5, v[10:11]
	v_fma_f64 v[0:1], v[0:1], 0.5, -v[10:11]
	s_delay_alu instid0(VALU_DEP_4) | instskip(NEXT) | instid1(VALU_DEP_4)
	v_fma_f64 v[10:11], -v[4:5], v[12:13], v[23:24]
	v_fma_f64 v[2:3], -v[4:5], v[12:13], v[2:3]
	s_delay_alu instid0(VALU_DEP_4) | instskip(NEXT) | instid1(VALU_DEP_4)
	v_fma_f64 v[12:13], v[21:22], v[4:5], v[6:7]
	v_fma_f64 v[0:1], -v[21:22], v[4:5], v[0:1]
	global_load_b128 v[4:7], v[19:20], off offset:7344
	v_add_nc_u32_e32 v21, 0x800, v146
	ds_store_2addr_b64 v21, v[12:13], v[10:11] offset0:50 offset1:51
	ds_store_b128 v14, v[0:3] offset:26928
	ds_load_b128 v[0:3], v146 offset:4896
	ds_load_b128 v[10:13], v14 offset:24480
	s_wait_dscnt 0x0
	v_add_f64_e64 v[21:22], v[0:1], -v[10:11]
	v_add_f64_e32 v[23:24], v[2:3], v[12:13]
	v_add_f64_e64 v[2:3], v[2:3], -v[12:13]
	v_add_f64_e32 v[0:1], v[0:1], v[10:11]
	s_delay_alu instid0(VALU_DEP_4) | instskip(NEXT) | instid1(VALU_DEP_4)
	v_mul_f64_e32 v[12:13], 0.5, v[21:22]
	v_mul_f64_e32 v[21:22], 0.5, v[23:24]
	s_delay_alu instid0(VALU_DEP_4) | instskip(SKIP_1) | instid1(VALU_DEP_3)
	v_mul_f64_e32 v[2:3], 0.5, v[2:3]
	s_wait_loadcnt 0x1
	v_mul_f64_e32 v[10:11], v[12:13], v[17:18]
	s_delay_alu instid0(VALU_DEP_2) | instskip(SKIP_1) | instid1(VALU_DEP_3)
	v_fma_f64 v[23:24], v[21:22], v[17:18], v[2:3]
	v_fma_f64 v[2:3], v[21:22], v[17:18], -v[2:3]
	v_fma_f64 v[17:18], v[0:1], 0.5, v[10:11]
	v_fma_f64 v[0:1], v[0:1], 0.5, -v[10:11]
	s_delay_alu instid0(VALU_DEP_4) | instskip(NEXT) | instid1(VALU_DEP_4)
	v_fma_f64 v[23:24], -v[15:16], v[12:13], v[23:24]
	v_fma_f64 v[2:3], -v[15:16], v[12:13], v[2:3]
	global_load_b128 v[10:13], v[19:20], off offset:9792
	v_fma_f64 v[17:18], v[21:22], v[15:16], v[17:18]
	v_fma_f64 v[0:1], -v[21:22], v[15:16], v[0:1]
	v_add_nc_u32_e32 v15, 0x1000, v146
	ds_store_2addr_b64 v15, v[17:18], v[23:24] offset0:100 offset1:101
	ds_store_b128 v14, v[0:3] offset:24480
	ds_load_b128 v[0:3], v146 offset:7344
	ds_load_b128 v[15:18], v14 offset:22032
	s_wait_dscnt 0x0
	v_add_f64_e64 v[21:22], v[0:1], -v[15:16]
	v_add_f64_e32 v[23:24], v[2:3], v[17:18]
	v_add_f64_e64 v[2:3], v[2:3], -v[17:18]
	v_add_f64_e32 v[0:1], v[0:1], v[15:16]
	s_delay_alu instid0(VALU_DEP_4) | instskip(NEXT) | instid1(VALU_DEP_4)
	v_mul_f64_e32 v[17:18], 0.5, v[21:22]
	v_mul_f64_e32 v[21:22], 0.5, v[23:24]
	s_delay_alu instid0(VALU_DEP_4) | instskip(SKIP_1) | instid1(VALU_DEP_3)
	v_mul_f64_e32 v[2:3], 0.5, v[2:3]
	s_wait_loadcnt 0x1
	v_mul_f64_e32 v[15:16], v[17:18], v[6:7]
	s_delay_alu instid0(VALU_DEP_2) | instskip(SKIP_1) | instid1(VALU_DEP_3)
	v_fma_f64 v[23:24], v[21:22], v[6:7], v[2:3]
	v_fma_f64 v[2:3], v[21:22], v[6:7], -v[2:3]
	v_fma_f64 v[6:7], v[0:1], 0.5, v[15:16]
	v_fma_f64 v[0:1], v[0:1], 0.5, -v[15:16]
	s_delay_alu instid0(VALU_DEP_4) | instskip(NEXT) | instid1(VALU_DEP_4)
	v_fma_f64 v[15:16], -v[4:5], v[17:18], v[23:24]
	v_fma_f64 v[2:3], -v[4:5], v[17:18], v[2:3]
	s_delay_alu instid0(VALU_DEP_4) | instskip(NEXT) | instid1(VALU_DEP_4)
	v_fma_f64 v[17:18], v[21:22], v[4:5], v[6:7]
	v_fma_f64 v[0:1], -v[21:22], v[4:5], v[0:1]
	global_load_b128 v[4:7], v[19:20], off offset:12240
	v_add_nc_u32_e32 v19, 0x1800, v146
	ds_store_2addr_b64 v19, v[17:18], v[15:16] offset0:150 offset1:151
	ds_store_b128 v14, v[0:3] offset:22032
	ds_load_b128 v[0:3], v146 offset:9792
	ds_load_b128 v[15:18], v14 offset:19584
	s_wait_dscnt 0x0
	v_add_f64_e64 v[19:20], v[0:1], -v[15:16]
	v_add_f64_e32 v[21:22], v[2:3], v[17:18]
	v_add_f64_e64 v[2:3], v[2:3], -v[17:18]
	v_add_f64_e32 v[0:1], v[0:1], v[15:16]
	s_delay_alu instid0(VALU_DEP_4) | instskip(NEXT) | instid1(VALU_DEP_4)
	v_mul_f64_e32 v[17:18], 0.5, v[19:20]
	v_mul_f64_e32 v[19:20], 0.5, v[21:22]
	s_delay_alu instid0(VALU_DEP_4) | instskip(SKIP_1) | instid1(VALU_DEP_3)
	v_mul_f64_e32 v[2:3], 0.5, v[2:3]
	s_wait_loadcnt 0x1
	v_mul_f64_e32 v[15:16], v[17:18], v[12:13]
	s_delay_alu instid0(VALU_DEP_2) | instskip(SKIP_1) | instid1(VALU_DEP_3)
	v_fma_f64 v[21:22], v[19:20], v[12:13], v[2:3]
	v_fma_f64 v[2:3], v[19:20], v[12:13], -v[2:3]
	v_fma_f64 v[12:13], v[0:1], 0.5, v[15:16]
	v_fma_f64 v[0:1], v[0:1], 0.5, -v[15:16]
	s_delay_alu instid0(VALU_DEP_4) | instskip(NEXT) | instid1(VALU_DEP_4)
	v_fma_f64 v[15:16], -v[10:11], v[17:18], v[21:22]
	v_fma_f64 v[2:3], -v[10:11], v[17:18], v[2:3]
	s_delay_alu instid0(VALU_DEP_4) | instskip(NEXT) | instid1(VALU_DEP_4)
	v_fma_f64 v[12:13], v[19:20], v[10:11], v[12:13]
	v_fma_f64 v[0:1], -v[19:20], v[10:11], v[0:1]
	v_add_nc_u32_e32 v10, 0x2000, v146
	ds_store_2addr_b64 v10, v[12:13], v[15:16] offset0:200 offset1:201
	ds_store_b128 v14, v[0:3] offset:19584
	ds_load_b128 v[0:3], v146 offset:12240
	ds_load_b128 v[10:13], v14 offset:17136
	s_wait_dscnt 0x0
	v_add_f64_e64 v[15:16], v[0:1], -v[10:11]
	v_add_f64_e32 v[17:18], v[2:3], v[12:13]
	v_add_f64_e64 v[2:3], v[2:3], -v[12:13]
	v_add_f64_e32 v[0:1], v[0:1], v[10:11]
	s_delay_alu instid0(VALU_DEP_4) | instskip(NEXT) | instid1(VALU_DEP_4)
	v_mul_f64_e32 v[12:13], 0.5, v[15:16]
	v_mul_f64_e32 v[15:16], 0.5, v[17:18]
	s_delay_alu instid0(VALU_DEP_4) | instskip(SKIP_1) | instid1(VALU_DEP_3)
	v_mul_f64_e32 v[2:3], 0.5, v[2:3]
	s_wait_loadcnt 0x0
	v_mul_f64_e32 v[10:11], v[12:13], v[6:7]
	s_delay_alu instid0(VALU_DEP_2) | instskip(SKIP_1) | instid1(VALU_DEP_3)
	v_fma_f64 v[17:18], v[15:16], v[6:7], v[2:3]
	v_fma_f64 v[2:3], v[15:16], v[6:7], -v[2:3]
	v_fma_f64 v[6:7], v[0:1], 0.5, v[10:11]
	v_fma_f64 v[0:1], v[0:1], 0.5, -v[10:11]
	s_delay_alu instid0(VALU_DEP_4) | instskip(NEXT) | instid1(VALU_DEP_4)
	v_fma_f64 v[10:11], -v[4:5], v[12:13], v[17:18]
	v_fma_f64 v[2:3], -v[4:5], v[12:13], v[2:3]
	s_delay_alu instid0(VALU_DEP_4) | instskip(NEXT) | instid1(VALU_DEP_4)
	v_fma_f64 v[6:7], v[15:16], v[4:5], v[6:7]
	v_fma_f64 v[0:1], -v[15:16], v[4:5], v[0:1]
	v_add_nc_u32_e32 v4, 0x2800, v146
	ds_store_2addr_b64 v4, v[6:7], v[10:11] offset0:250 offset1:251
	ds_store_b128 v14, v[0:3] offset:17136
	global_wb scope:SCOPE_SE
	s_wait_dscnt 0x0
	s_barrier_signal -1
	s_barrier_wait -1
	global_inv scope:SCOPE_SE
	s_and_saveexec_b32 s0, vcc_lo
	s_cbranch_execz .LBB0_20
; %bb.18:
	ds_load_b128 v[2:5], v146
	ds_load_b128 v[10:13], v146 offset:2448
	ds_load_b128 v[14:17], v146 offset:4896
	;; [unrolled: 1-line block ×11, first 2 shown]
	v_add_co_u32 v0, vcc_lo, s8, v70
	s_wait_alu 0xfffd
	v_add_co_ci_u32_e32 v1, vcc_lo, s9, v71, vcc_lo
	s_delay_alu instid0(VALU_DEP_2) | instskip(SKIP_1) | instid1(VALU_DEP_2)
	v_add_co_u32 v6, vcc_lo, v0, v8
	s_wait_alu 0xfffd
	v_add_co_ci_u32_e32 v7, vcc_lo, v1, v9, vcc_lo
	v_cmp_eq_u32_e32 vcc_lo, 0x98, v68
	s_wait_dscnt 0xb
	global_store_b128 v[6:7], v[2:5], off
	s_wait_dscnt 0xa
	global_store_b128 v[6:7], v[10:13], off offset:2448
	s_wait_dscnt 0x9
	global_store_b128 v[6:7], v[14:17], off offset:4896
	s_wait_dscnt 0x8
	global_store_b128 v[6:7], v[18:21], off offset:7344
	s_wait_dscnt 0x7
	global_store_b128 v[6:7], v[22:25], off offset:9792
	s_wait_dscnt 0x6
	global_store_b128 v[6:7], v[26:29], off offset:12240
	s_wait_dscnt 0x5
	global_store_b128 v[6:7], v[30:33], off offset:14688
	s_wait_dscnt 0x4
	global_store_b128 v[6:7], v[34:37], off offset:17136
	s_wait_dscnt 0x3
	global_store_b128 v[6:7], v[38:41], off offset:19584
	s_wait_dscnt 0x2
	global_store_b128 v[6:7], v[42:45], off offset:22032
	s_wait_dscnt 0x1
	global_store_b128 v[6:7], v[46:49], off offset:24480
	s_wait_dscnt 0x0
	global_store_b128 v[6:7], v[50:53], off offset:26928
	s_and_b32 exec_lo, exec_lo, vcc_lo
	s_cbranch_execz .LBB0_20
; %bb.19:
	v_mov_b32_e32 v2, 0
	ds_load_b128 v[2:5], v2 offset:29376
	s_wait_dscnt 0x0
	global_store_b128 v[0:1], v[2:5], off offset:29376
.LBB0_20:
	s_nop 0
	s_sendmsg sendmsg(MSG_DEALLOC_VGPRS)
	s_endpgm
	.section	.rodata,"a",@progbits
	.p2align	6, 0x0
	.amdhsa_kernel fft_rtc_fwd_len1836_factors_17_3_3_2_6_wgs_153_tpt_153_halfLds_dp_ip_CI_unitstride_sbrr_R2C_dirReg
		.amdhsa_group_segment_fixed_size 0
		.amdhsa_private_segment_fixed_size 0
		.amdhsa_kernarg_size 88
		.amdhsa_user_sgpr_count 2
		.amdhsa_user_sgpr_dispatch_ptr 0
		.amdhsa_user_sgpr_queue_ptr 0
		.amdhsa_user_sgpr_kernarg_segment_ptr 1
		.amdhsa_user_sgpr_dispatch_id 0
		.amdhsa_user_sgpr_private_segment_size 0
		.amdhsa_wavefront_size32 1
		.amdhsa_uses_dynamic_stack 0
		.amdhsa_enable_private_segment 0
		.amdhsa_system_sgpr_workgroup_id_x 1
		.amdhsa_system_sgpr_workgroup_id_y 0
		.amdhsa_system_sgpr_workgroup_id_z 0
		.amdhsa_system_sgpr_workgroup_info 0
		.amdhsa_system_vgpr_workitem_id 0
		.amdhsa_next_free_vgpr 253
		.amdhsa_next_free_sgpr 54
		.amdhsa_reserve_vcc 1
		.amdhsa_float_round_mode_32 0
		.amdhsa_float_round_mode_16_64 0
		.amdhsa_float_denorm_mode_32 3
		.amdhsa_float_denorm_mode_16_64 3
		.amdhsa_fp16_overflow 0
		.amdhsa_workgroup_processor_mode 1
		.amdhsa_memory_ordered 1
		.amdhsa_forward_progress 0
		.amdhsa_round_robin_scheduling 0
		.amdhsa_exception_fp_ieee_invalid_op 0
		.amdhsa_exception_fp_denorm_src 0
		.amdhsa_exception_fp_ieee_div_zero 0
		.amdhsa_exception_fp_ieee_overflow 0
		.amdhsa_exception_fp_ieee_underflow 0
		.amdhsa_exception_fp_ieee_inexact 0
		.amdhsa_exception_int_div_zero 0
	.end_amdhsa_kernel
	.text
.Lfunc_end0:
	.size	fft_rtc_fwd_len1836_factors_17_3_3_2_6_wgs_153_tpt_153_halfLds_dp_ip_CI_unitstride_sbrr_R2C_dirReg, .Lfunc_end0-fft_rtc_fwd_len1836_factors_17_3_3_2_6_wgs_153_tpt_153_halfLds_dp_ip_CI_unitstride_sbrr_R2C_dirReg
                                        ; -- End function
	.section	.AMDGPU.csdata,"",@progbits
; Kernel info:
; codeLenInByte = 12752
; NumSgprs: 56
; NumVgprs: 253
; ScratchSize: 0
; MemoryBound: 0
; FloatMode: 240
; IeeeMode: 1
; LDSByteSize: 0 bytes/workgroup (compile time only)
; SGPRBlocks: 6
; VGPRBlocks: 31
; NumSGPRsForWavesPerEU: 56
; NumVGPRsForWavesPerEU: 253
; Occupancy: 5
; WaveLimiterHint : 1
; COMPUTE_PGM_RSRC2:SCRATCH_EN: 0
; COMPUTE_PGM_RSRC2:USER_SGPR: 2
; COMPUTE_PGM_RSRC2:TRAP_HANDLER: 0
; COMPUTE_PGM_RSRC2:TGID_X_EN: 1
; COMPUTE_PGM_RSRC2:TGID_Y_EN: 0
; COMPUTE_PGM_RSRC2:TGID_Z_EN: 0
; COMPUTE_PGM_RSRC2:TIDIG_COMP_CNT: 0
	.text
	.p2alignl 7, 3214868480
	.fill 96, 4, 3214868480
	.type	__hip_cuid_33821b71fdf8751a,@object ; @__hip_cuid_33821b71fdf8751a
	.section	.bss,"aw",@nobits
	.globl	__hip_cuid_33821b71fdf8751a
__hip_cuid_33821b71fdf8751a:
	.byte	0                               ; 0x0
	.size	__hip_cuid_33821b71fdf8751a, 1

	.ident	"AMD clang version 19.0.0git (https://github.com/RadeonOpenCompute/llvm-project roc-6.4.0 25133 c7fe45cf4b819c5991fe208aaa96edf142730f1d)"
	.section	".note.GNU-stack","",@progbits
	.addrsig
	.addrsig_sym __hip_cuid_33821b71fdf8751a
	.amdgpu_metadata
---
amdhsa.kernels:
  - .args:
      - .actual_access:  read_only
        .address_space:  global
        .offset:         0
        .size:           8
        .value_kind:     global_buffer
      - .offset:         8
        .size:           8
        .value_kind:     by_value
      - .actual_access:  read_only
        .address_space:  global
        .offset:         16
        .size:           8
        .value_kind:     global_buffer
      - .actual_access:  read_only
        .address_space:  global
        .offset:         24
        .size:           8
        .value_kind:     global_buffer
      - .offset:         32
        .size:           8
        .value_kind:     by_value
      - .actual_access:  read_only
        .address_space:  global
        .offset:         40
        .size:           8
        .value_kind:     global_buffer
      - .actual_access:  read_only
        .address_space:  global
        .offset:         48
        .size:           8
        .value_kind:     global_buffer
      - .offset:         56
        .size:           4
        .value_kind:     by_value
      - .actual_access:  read_only
        .address_space:  global
        .offset:         64
        .size:           8
        .value_kind:     global_buffer
      - .actual_access:  read_only
        .address_space:  global
        .offset:         72
        .size:           8
        .value_kind:     global_buffer
      - .address_space:  global
        .offset:         80
        .size:           8
        .value_kind:     global_buffer
    .group_segment_fixed_size: 0
    .kernarg_segment_align: 8
    .kernarg_segment_size: 88
    .language:       OpenCL C
    .language_version:
      - 2
      - 0
    .max_flat_workgroup_size: 153
    .name:           fft_rtc_fwd_len1836_factors_17_3_3_2_6_wgs_153_tpt_153_halfLds_dp_ip_CI_unitstride_sbrr_R2C_dirReg
    .private_segment_fixed_size: 0
    .sgpr_count:     56
    .sgpr_spill_count: 0
    .symbol:         fft_rtc_fwd_len1836_factors_17_3_3_2_6_wgs_153_tpt_153_halfLds_dp_ip_CI_unitstride_sbrr_R2C_dirReg.kd
    .uniform_work_group_size: 1
    .uses_dynamic_stack: false
    .vgpr_count:     253
    .vgpr_spill_count: 0
    .wavefront_size: 32
    .workgroup_processor_mode: 1
amdhsa.target:   amdgcn-amd-amdhsa--gfx1201
amdhsa.version:
  - 1
  - 2
...

	.end_amdgpu_metadata
